;; amdgpu-corpus repo=ROCm/rocFFT kind=compiled arch=gfx950 opt=O3
	.text
	.amdgcn_target "amdgcn-amd-amdhsa--gfx950"
	.amdhsa_code_object_version 6
	.protected	bluestein_single_back_len780_dim1_dp_op_CI_CI ; -- Begin function bluestein_single_back_len780_dim1_dp_op_CI_CI
	.globl	bluestein_single_back_len780_dim1_dp_op_CI_CI
	.p2align	8
	.type	bluestein_single_back_len780_dim1_dp_op_CI_CI,@function
bluestein_single_back_len780_dim1_dp_op_CI_CI: ; @bluestein_single_back_len780_dim1_dp_op_CI_CI
; %bb.0:
	s_load_dwordx4 s[16:19], s[0:1], 0x28
	v_mul_u32_u24_e32 v1, 0x349, v0
	v_lshrrev_b32_e32 v2, 16, v1
	v_mad_u64_u32 v[186:187], s[2:3], s2, 3, v[2:3]
	v_mov_b32_e32 v185, 0
	v_mov_b32_e32 v187, v185
	s_waitcnt lgkmcnt(0)
	v_cmp_gt_u64_e32 vcc, s[16:17], v[186:187]
	s_and_saveexec_b64 s[2:3], vcc
	s_cbranch_execz .LBB0_18
; %bb.1:
	s_load_dwordx4 s[4:7], s[0:1], 0x18
	s_load_dwordx4 s[8:11], s[0:1], 0x0
	v_mul_lo_u16_e32 v1, 0x4e, v2
	v_sub_u16_e32 v184, v0, v1
	v_mov_b32_e32 v4, s18
	s_waitcnt lgkmcnt(0)
	s_load_dwordx4 s[12:15], s[4:5], 0x0
	v_mov_b32_e32 v5, s19
	v_mov_b32_e32 v38, 0x1860
	v_lshlrev_b32_e32 v148, 4, v184
	v_mov_b32_e32 v149, v185
	s_waitcnt lgkmcnt(0)
	v_mad_u64_u32 v[0:1], s[2:3], s14, v186, 0
	v_mov_b32_e32 v2, v1
	v_mad_u64_u32 v[2:3], s[2:3], s15, v186, v[2:3]
	v_mov_b32_e32 v1, v2
	;; [unrolled: 2-line block ×4, first 2 shown]
	v_lshl_add_u64 v[0:1], v[0:1], 4, v[4:5]
	v_lshl_add_u64 v[0:1], v[2:3], 4, v[0:1]
	v_mad_u64_u32 v[4:5], s[2:3], s12, v38, v[0:1]
	v_lshl_add_u64 v[20:21], s[8:9], 0, v[148:149]
	s_mul_i32 s2, s13, 0x1860
	s_movk_i32 s3, 0x1000
	v_add_u32_e32 v5, s2, v5
	v_add_co_u32_e32 v32, vcc, s3, v20
	v_mov_b32_e32 v30, 0xffffec80
	s_mul_i32 s3, s13, 0xffffec80
	global_load_dwordx4 v[40:43], v[0:1], off
	global_load_dwordx4 v[72:75], v148, s[8:9]
	v_mad_u64_u32 v[8:9], s[4:5], s12, v30, v[4:5]
	s_sub_i32 s3, s3, s12
	v_addc_co_u32_e32 v33, vcc, 0, v21, vcc
	v_add_u32_e32 v9, s3, v9
	global_load_dwordx4 v[44:47], v[32:33], off offset:2144
	global_load_dwordx4 v[0:3], v[4:5], off
	s_nop 0
	global_load_dwordx4 v[4:7], v[8:9], off
	global_load_dwordx4 v[48:51], v148, s[8:9] offset:1248
	v_mad_u64_u32 v[8:9], s[4:5], s12, v38, v[8:9]
	v_add_u32_e32 v9, s2, v9
	v_mad_u64_u32 v[16:17], s[4:5], s12, v30, v[8:9]
	v_add_u32_e32 v17, s3, v17
	global_load_dwordx4 v[52:55], v[32:33], off offset:3392
	v_mad_u64_u32 v[22:23], s[4:5], s12, v38, v[16:17]
	global_load_dwordx4 v[8:11], v[8:9], off
	s_movk_i32 s4, 0x2000
	global_load_dwordx4 v[12:15], v[16:17], off
	global_load_dwordx4 v[56:59], v148, s[8:9] offset:2496
	v_add_co_u32_e32 v36, vcc, s4, v20
	v_add_u32_e32 v23, s2, v23
	s_nop 0
	v_addc_co_u32_e32 v37, vcc, 0, v21, vcc
	global_load_dwordx4 v[16:19], v[22:23], off
	global_load_dwordx4 v[60:63], v[36:37], off offset:544
	v_mad_u64_u32 v[24:25], s[4:5], s12, v30, v[22:23]
	v_add_u32_e32 v25, s3, v25
	global_load_dwordx4 v[20:23], v[24:25], off
	global_load_dwordx4 v[68:71], v148, s[8:9] offset:3744
	v_mad_u64_u32 v[28:29], s[4:5], s12, v38, v[24:25]
	v_add_u32_e32 v29, s2, v29
	global_load_dwordx4 v[24:27], v[28:29], off
	global_load_dwordx4 v[64:67], v[36:37], off offset:1792
	v_mad_u64_u32 v[34:35], s[4:5], s12, v30, v[28:29]
	v_add_u32_e32 v35, s3, v35
	global_load_dwordx4 v[28:31], v[34:35], off
	global_load_dwordx4 v[76:79], v[32:33], off offset:896
	v_mad_u64_u32 v[38:39], s[4:5], s12, v38, v[34:35]
	v_add_u32_e32 v39, s2, v39
	global_load_dwordx4 v[86:89], v[36:37], off offset:3040
	global_load_dwordx4 v[32:35], v[38:39], off
	s_load_dwordx2 s[12:13], s[0:1], 0x38
	s_mov_b32 s0, 0xaaaaaaab
	v_mul_hi_u32 v36, v186, s0
	v_lshrrev_b32_e32 v36, 1, v36
	v_lshl_add_u32 v36, v36, 1, v36
	v_sub_u32_e32 v36, v186, v36
	v_mul_u32_u24_e32 v36, 0x30c, v36
	v_accvgpr_write_b32 a66, v36
	v_lshlrev_b32_e32 v194, 4, v36
	v_add_u32_e32 v187, v148, v194
	s_load_dwordx4 s[4:7], s[6:7], 0x0
	s_mov_b64 s[0:1], 0x4e
	v_lshl_add_u64 v[84:85], v[184:185], 0, s[0:1]
	s_mov_b64 s[0:1], 0x9c
	v_lshl_add_u64 v[82:83], v[184:185], 0, s[0:1]
	;; [unrolled: 2-line block ×3, first 2 shown]
	v_lshl_add_u32 v173, v84, 5, v194
	v_lshl_add_u32 v196, v82, 5, v194
	;; [unrolled: 1-line block ×4, first 2 shown]
	v_cmp_gt_u16_e32 vcc, 26, v184
	s_waitcnt vmcnt(18)
	v_mul_f64 v[36:37], v[42:43], v[74:75]
	v_mul_f64 v[38:39], v[40:41], v[74:75]
	v_fmac_f64_e32 v[36:37], v[40:41], v[72:73]
	v_fma_f64 v[38:39], v[42:43], v[72:73], -v[38:39]
	ds_write_b128 v187, v[36:39]
	v_accvgpr_write_b32 a28, v72
	v_accvgpr_write_b32 a29, v73
	;; [unrolled: 1-line block ×3, first 2 shown]
	s_waitcnt vmcnt(16)
	v_mul_f64 v[36:37], v[2:3], v[46:47]
	v_fmac_f64_e32 v[36:37], v[0:1], v[44:45]
	v_mul_f64 v[0:1], v[0:1], v[46:47]
	v_fma_f64 v[38:39], v[2:3], v[44:45], -v[0:1]
	s_waitcnt vmcnt(14)
	v_mul_f64 v[0:1], v[6:7], v[50:51]
	v_mul_f64 v[2:3], v[4:5], v[50:51]
	v_fmac_f64_e32 v[0:1], v[4:5], v[48:49]
	v_fma_f64 v[2:3], v[6:7], v[48:49], -v[2:3]
	ds_write_b128 v187, v[0:3] offset:1248
	ds_write_b128 v187, v[36:39] offset:6240
	v_accvgpr_write_b32 a4, v48
	s_waitcnt vmcnt(12)
	v_mul_f64 v[0:1], v[10:11], v[54:55]
	v_mul_f64 v[2:3], v[8:9], v[54:55]
	v_fmac_f64_e32 v[0:1], v[8:9], v[52:53]
	v_fma_f64 v[2:3], v[10:11], v[52:53], -v[2:3]
	ds_write_b128 v187, v[0:3] offset:7488
	s_waitcnt vmcnt(10)
	v_mul_f64 v[0:1], v[14:15], v[58:59]
	v_mul_f64 v[2:3], v[12:13], v[58:59]
	v_fmac_f64_e32 v[0:1], v[12:13], v[56:57]
	v_fma_f64 v[2:3], v[14:15], v[56:57], -v[2:3]
	ds_write_b128 v187, v[0:3] offset:2496
	;; [unrolled: 6-line block ×7, first 2 shown]
	s_waitcnt lgkmcnt(0)
	s_barrier
	ds_read_b128 v[0:3], v187 offset:6240
	ds_read_b128 v[4:7], v187
	ds_read_b128 v[8:11], v187 offset:1248
	ds_read_b128 v[12:15], v187 offset:7488
	;; [unrolled: 1-line block ×8, first 2 shown]
	s_waitcnt lgkmcnt(8)
	v_add_f64 v[0:1], v[4:5], -v[0:1]
	v_add_f64 v[2:3], v[6:7], -v[2:3]
	s_waitcnt lgkmcnt(6)
	v_add_f64 v[12:13], v[8:9], -v[12:13]
	v_add_f64 v[14:15], v[10:11], -v[14:15]
	;; [unrolled: 3-line block ×5, first 2 shown]
	v_lshlrev_b16_e32 v36, 1, v184
	v_accvgpr_write_b32 a8, v52
	v_accvgpr_write_b32 a12, v56
	;; [unrolled: 1-line block ×4, first 2 shown]
	v_fma_f64 v[4:5], v[4:5], 2.0, -v[0:1]
	v_fma_f64 v[6:7], v[6:7], 2.0, -v[2:3]
	;; [unrolled: 1-line block ×10, first 2 shown]
	v_lshl_add_u32 v172, v36, 4, v194
	v_accvgpr_write_b32 a31, v75
	v_accvgpr_write_b32 a5, v49
	;; [unrolled: 1-line block ×16, first 2 shown]
	s_barrier
	ds_write_b128 v172, v[4:7]
	ds_write_b128 v172, v[0:3] offset:16
	ds_write_b128 v173, v[8:11]
	ds_write_b128 v173, v[12:15] offset:16
	;; [unrolled: 2-line block ×4, first 2 shown]
	ds_write_b128 v149, v[28:31] offset:9984
	ds_write_b128 v149, v[100:103] offset:10000
	s_waitcnt lgkmcnt(0)
	s_barrier
	ds_read_b128 v[104:107], v187
	ds_read_b128 v[108:111], v187 offset:1248
	ds_read_b128 v[60:63], v187 offset:8320
	;; [unrolled: 1-line block ×8, first 2 shown]
	v_accvgpr_write_b32 a0, v44
	v_accvgpr_write_b32 a24, v68
	;; [unrolled: 1-line block ×16, first 2 shown]
                                        ; implicit-def: $vgpr68_vgpr69
                                        ; implicit-def: $vgpr76_vgpr77
	s_and_saveexec_b64 s[0:1], vcc
	s_cbranch_execz .LBB0_3
; %bb.2:
	ds_read_b128 v[100:103], v187 offset:3744
	ds_read_b128 v[68:71], v187 offset:7904
	ds_read_b128 v[76:79], v187 offset:12064
.LBB0_3:
	s_or_b64 exec, exec, s[0:1]
	v_and_b32_e32 v195, 1, v184
	v_lshlrev_b32_e32 v0, 5, v195
	global_load_dwordx4 v[40:43], v0, s[10:11] offset:16
	global_load_dwordx4 v[44:47], v0, s[10:11]
	s_mov_b32 s0, 0xe8584caa
	s_mov_b32 s1, 0x3febb67a
	;; [unrolled: 1-line block ×4, first 2 shown]
	s_waitcnt lgkmcnt(0)
	s_barrier
	s_waitcnt vmcnt(1)
	v_mul_f64 v[12:13], v[60:61], v[42:43]
	s_waitcnt vmcnt(0)
	v_mul_f64 v[0:1], v[74:75], v[46:47]
	v_fma_f64 v[6:7], v[72:73], v[44:45], -v[0:1]
	v_mul_f64 v[0:1], v[62:63], v[42:43]
	v_mul_f64 v[8:9], v[72:73], v[46:47]
	v_fma_f64 v[10:11], v[60:61], v[40:41], -v[0:1]
	v_add_f64 v[32:33], v[104:105], v[6:7]
	v_fmac_f64_e32 v[8:9], v[74:75], v[44:45]
	v_fmac_f64_e32 v[12:13], v[62:63], v[40:41]
	v_add_f64 v[96:97], v[32:33], v[10:11]
	v_add_f64 v[32:33], v[6:7], v[10:11]
	v_fmac_f64_e32 v[104:105], -0.5, v[32:33]
	v_add_f64 v[32:33], v[8:9], -v[12:13]
	v_mul_f64 v[0:1], v[66:67], v[46:47]
	v_fma_f64 v[116:117], s[0:1], v[32:33], v[104:105]
	v_fmac_f64_e32 v[104:105], s[2:3], v[32:33]
	v_add_f64 v[32:33], v[106:107], v[8:9]
	v_add_f64 v[8:9], v[8:9], v[12:13]
	v_fma_f64 v[14:15], v[64:65], v[44:45], -v[0:1]
	v_mul_f64 v[0:1], v[54:55], v[42:43]
	v_fmac_f64_e32 v[106:107], -0.5, v[8:9]
	v_add_f64 v[6:7], v[6:7], -v[10:11]
	v_mul_f64 v[16:17], v[64:65], v[46:47]
	v_fma_f64 v[18:19], v[52:53], v[40:41], -v[0:1]
	v_mul_f64 v[20:21], v[52:53], v[42:43]
	v_fma_f64 v[118:119], s[2:3], v[6:7], v[106:107]
	v_fmac_f64_e32 v[106:107], s[0:1], v[6:7]
	v_add_f64 v[6:7], v[108:109], v[14:15]
	v_fmac_f64_e32 v[16:17], v[66:67], v[44:45]
	v_fmac_f64_e32 v[20:21], v[54:55], v[40:41]
	v_add_f64 v[120:121], v[6:7], v[18:19]
	v_add_f64 v[6:7], v[14:15], v[18:19]
	v_fmac_f64_e32 v[108:109], -0.5, v[6:7]
	v_add_f64 v[6:7], v[16:17], -v[20:21]
	v_fma_f64 v[124:125], s[0:1], v[6:7], v[108:109]
	v_fmac_f64_e32 v[108:109], s[2:3], v[6:7]
	v_add_f64 v[6:7], v[110:111], v[16:17]
	v_mul_f64 v[0:1], v[58:59], v[46:47]
	v_add_f64 v[122:123], v[6:7], v[20:21]
	v_add_f64 v[6:7], v[16:17], v[20:21]
	v_fma_f64 v[22:23], v[56:57], v[44:45], -v[0:1]
	v_mul_f64 v[0:1], v[50:51], v[42:43]
	v_fmac_f64_e32 v[110:111], -0.5, v[6:7]
	v_add_f64 v[6:7], v[14:15], -v[18:19]
	v_mul_f64 v[24:25], v[56:57], v[46:47]
	v_fma_f64 v[26:27], v[48:49], v[40:41], -v[0:1]
	v_mul_f64 v[28:29], v[48:49], v[42:43]
	v_fma_f64 v[126:127], s[2:3], v[6:7], v[110:111]
	v_fmac_f64_e32 v[110:111], s[0:1], v[6:7]
	v_add_f64 v[6:7], v[112:113], v[22:23]
	v_fmac_f64_e32 v[24:25], v[58:59], v[44:45]
	v_fmac_f64_e32 v[28:29], v[50:51], v[40:41]
	v_add_f64 v[128:129], v[6:7], v[26:27]
	v_add_f64 v[6:7], v[22:23], v[26:27]
	v_fmac_f64_e32 v[112:113], -0.5, v[6:7]
	v_add_f64 v[6:7], v[24:25], -v[28:29]
	v_fma_f64 v[132:133], s[0:1], v[6:7], v[112:113]
	v_fmac_f64_e32 v[112:113], s[2:3], v[6:7]
	v_add_f64 v[6:7], v[114:115], v[24:25]
	v_mul_f64 v[0:1], v[70:71], v[46:47]
	v_add_f64 v[130:131], v[6:7], v[28:29]
	v_add_f64 v[6:7], v[24:25], v[28:29]
	v_fma_f64 v[0:1], v[68:69], v[44:45], -v[0:1]
	v_mul_f64 v[4:5], v[78:79], v[42:43]
	v_fmac_f64_e32 v[114:115], -0.5, v[6:7]
	v_add_f64 v[6:7], v[22:23], -v[26:27]
	v_mul_f64 v[2:3], v[68:69], v[46:47]
	v_fma_f64 v[4:5], v[76:77], v[40:41], -v[4:5]
	v_mul_f64 v[30:31], v[76:77], v[42:43]
	v_fma_f64 v[134:135], s[2:3], v[6:7], v[114:115]
	v_fmac_f64_e32 v[114:115], s[0:1], v[6:7]
	v_add_f64 v[6:7], v[100:101], v[0:1]
	v_fmac_f64_e32 v[2:3], v[70:71], v[44:45]
	v_fmac_f64_e32 v[30:31], v[78:79], v[40:41]
	v_add_f64 v[136:137], v[6:7], v[4:5]
	v_add_f64 v[6:7], v[0:1], v[4:5]
	v_fmac_f64_e32 v[100:101], -0.5, v[6:7]
	v_add_f64 v[6:7], v[2:3], -v[30:31]
	v_fma_f64 v[140:141], s[0:1], v[6:7], v[100:101]
	v_fmac_f64_e32 v[100:101], s[2:3], v[6:7]
	v_add_f64 v[6:7], v[102:103], v[2:3]
	v_add_f64 v[2:3], v[2:3], v[30:31]
	v_fmac_f64_e32 v[102:103], -0.5, v[2:3]
	v_add_f64 v[0:1], v[0:1], -v[4:5]
	v_fma_f64 v[142:143], s[2:3], v[0:1], v[102:103]
	v_fmac_f64_e32 v[102:103], s[0:1], v[0:1]
	v_lshrrev_b32_e32 v0, 1, v184
	v_mul_u32_u24_e32 v0, 6, v0
	v_or_b32_e32 v0, v0, v195
	v_add_f64 v[98:99], v[32:33], v[12:13]
	v_lshl_add_u32 v0, v0, 4, v194
	ds_write_b128 v0, v[96:99]
	ds_write_b128 v0, v[116:119] offset:32
	v_accvgpr_write_b32 a47, v0
	ds_write_b128 v0, v[104:107] offset:64
	v_lshrrev_b32_e32 v0, 1, v84
	v_mul_u32_u24_e32 v0, 6, v0
	v_or_b32_e32 v0, v0, v195
	v_lshl_add_u32 v0, v0, 4, v194
	ds_write_b128 v0, v[120:123]
	ds_write_b128 v0, v[124:127] offset:32
	v_accvgpr_write_b32 a64, v0
	ds_write_b128 v0, v[108:111] offset:64
	v_lshrrev_b32_e32 v0, 1, v82
	v_mul_u32_u24_e32 v0, 6, v0
	v_or_b32_e32 v0, v0, v195
	v_lshl_add_u32 v185, v0, 4, v194
	v_lshrrev_b32_e32 v0, 1, v80
	v_add_f64 v[138:139], v[6:7], v[30:31]
	v_accvgpr_write_b32 a65, v0
	ds_write_b128 v185, v[128:131]
	ds_write_b128 v185, v[132:135] offset:32
	ds_write_b128 v185, v[112:115] offset:64
	s_and_saveexec_b64 s[0:1], vcc
	s_cbranch_execz .LBB0_5
; %bb.4:
	v_accvgpr_read_b32 v0, a65
	v_mul_u32_u24_e32 v0, 6, v0
	v_or_b32_e32 v0, v0, v195
	v_lshl_add_u32 v0, v0, 4, v194
	ds_write_b128 v0, v[136:139]
	ds_write_b128 v0, v[140:143] offset:32
	ds_write_b128 v0, v[100:103] offset:64
.LBB0_5:
	s_or_b64 exec, exec, s[0:1]
	v_cmp_gt_u16_e64 s[0:1], 60, v184
	s_waitcnt lgkmcnt(0)
	s_barrier
	s_waitcnt lgkmcnt(0)
                                        ; implicit-def: $vgpr144_vgpr145
	s_and_saveexec_b64 s[2:3], s[0:1]
	s_cbranch_execz .LBB0_7
; %bb.6:
	ds_read_b128 v[96:99], v187
	ds_read_b128 v[116:119], v187 offset:960
	ds_read_b128 v[104:107], v187 offset:1920
	;; [unrolled: 1-line block ×12, first 2 shown]
.LBB0_7:
	s_or_b64 exec, exec, s[2:3]
	s_movk_i32 s2, 0xab
	v_mul_lo_u16_sdwa v0, v184, s2 dst_sel:DWORD dst_unused:UNUSED_PAD src0_sel:BYTE_0 src1_sel:DWORD
	v_lshrrev_b16_e32 v0, 10, v0
	v_accvgpr_write_b32 a40, v0
	v_mul_lo_u16_e32 v0, 6, v0
	v_sub_u16_e32 v0, v184, v0
	v_and_b32_e32 v2, 0xff, v0
	s_movk_i32 s2, 0xc0
	v_mov_b64_e32 v[0:1], s[10:11]
	v_mad_u64_u32 v[0:1], s[2:3], v2, s2, v[0:1]
	global_load_dwordx4 v[200:203], v[0:1], off offset:64
	global_load_dwordx4 v[24:27], v[0:1], off offset:80
	;; [unrolled: 1-line block ×12, first 2 shown]
	s_mov_b32 s16, 0x4267c47c
	v_accvgpr_write_b32 a41, v2
	s_mov_b32 s2, 0xe00740e9
	s_mov_b32 s17, 0xbfddbe06
	;; [unrolled: 1-line block ×31, first 2 shown]
	v_add_u32_e32 v48, 0x2700, v149
	v_accvgpr_write_b32 a67, v48
	s_waitcnt lgkmcnt(0)
	s_barrier
	s_waitcnt vmcnt(11)
	v_mul_f64 v[150:151], v[116:117], v[202:203]
	v_mul_f64 v[0:1], v[118:119], v[202:203]
	s_waitcnt vmcnt(10)
	v_mul_f64 v[152:153], v[104:105], v[26:27]
	s_waitcnt vmcnt(9)
	v_mul_f64 v[4:5], v[122:123], v[30:31]
	v_fmac_f64_e32 v[150:151], v[118:119], v[200:201]
	v_mul_f64 v[2:3], v[106:107], v[26:27]
	v_mul_f64 v[154:155], v[120:121], v[30:31]
	v_fma_f64 v[50:51], v[116:117], v[200:201], -v[0:1]
	v_fmac_f64_e32 v[152:153], v[106:107], v[24:25]
	v_fma_f64 v[176:177], v[120:121], v[28:29], -v[4:5]
	s_waitcnt vmcnt(1)
	v_mul_f64 v[170:171], v[100:101], v[70:71]
	s_waitcnt vmcnt(0)
	v_mul_f64 v[178:179], v[144:145], v[66:67]
	v_mul_f64 v[22:23], v[146:147], v[66:67]
	v_fmac_f64_e32 v[178:179], v[146:147], v[64:65]
	v_mul_f64 v[20:21], v[102:103], v[70:71]
	v_fmac_f64_e32 v[170:171], v[102:103], v[68:69]
	v_fma_f64 v[144:145], v[144:145], v[64:65], -v[22:23]
	v_add_f64 v[120:121], v[150:151], -v[178:179]
	v_mul_f64 v[168:169], v[140:141], v[82:83]
	v_fma_f64 v[174:175], v[104:105], v[24:25], -v[2:3]
	v_fma_f64 v[182:183], v[100:101], v[68:69], -v[20:21]
	v_add_f64 v[192:193], v[50:51], v[144:145]
	v_add_f64 v[212:213], v[152:153], -v[170:171]
	v_add_f64 v[206:207], v[50:51], -v[144:145]
	v_mul_f64 v[52:53], v[120:121], s[16:17]
	v_mul_f64 v[18:19], v[142:143], v[82:83]
	v_fmac_f64_e32 v[154:155], v[122:123], v[28:29]
	v_fmac_f64_e32 v[168:169], v[142:143], v[80:81]
	v_add_f64 v[122:123], v[150:151], v[178:179]
	v_add_f64 v[198:199], v[174:175], v[182:183]
	v_mul_f64 v[54:55], v[212:213], s[18:19]
	v_mul_f64 v[56:57], v[206:207], s[16:17]
	v_fma_f64 v[0:1], s[2:3], v[192:193], v[52:53]
	v_add_f64 v[210:211], v[174:175], -v[182:183]
	v_mul_f64 v[156:157], v[124:125], v[34:35]
	v_mul_f64 v[166:167], v[136:137], v[94:95]
	v_fma_f64 v[180:181], v[140:141], v[80:81], -v[18:19]
	v_add_f64 v[224:225], v[152:153], v[170:171]
	v_fma_f64 v[2:3], s[14:15], v[198:199], v[54:55]
	v_fma_f64 v[4:5], v[122:123], s[2:3], -v[56:57]
	v_add_f64 v[0:1], v[96:97], v[0:1]
	v_mul_f64 v[58:59], v[210:211], s[18:19]
	v_add_f64 v[250:251], v[154:155], -v[168:169]
	v_mul_f64 v[6:7], v[126:127], v[34:35]
	v_mul_f64 v[160:161], v[128:129], v[90:91]
	;; [unrolled: 1-line block ×5, first 2 shown]
	v_fmac_f64_e32 v[156:157], v[126:127], v[32:33]
	v_fmac_f64_e32 v[166:167], v[138:139], v[92:93]
	v_add_f64 v[4:5], v[98:99], v[4:5]
	v_add_f64 v[0:1], v[2:3], v[0:1]
	v_fma_f64 v[2:3], v[224:225], s[14:15], -v[58:59]
	v_add_f64 v[214:215], v[176:177], v[180:181]
	v_mul_f64 v[60:61], v[250:251], s[26:27]
	v_add_f64 v[228:229], v[176:177], -v[180:181]
	v_mul_f64 v[158:159], v[108:109], v[74:75]
	v_mul_f64 v[10:11], v[130:131], v[90:91]
	;; [unrolled: 1-line block ×3, first 2 shown]
	v_fma_f64 v[124:125], v[124:125], v[32:33], -v[6:7]
	v_fmac_f64_e32 v[160:161], v[130:131], v[88:89]
	v_fma_f64 v[130:131], v[132:133], v[84:85], -v[12:13]
	v_fmac_f64_e32 v[162:163], v[134:135], v[84:85]
	v_fma_f64 v[134:135], v[136:137], v[92:93], -v[16:17]
	v_add_f64 v[2:3], v[2:3], v[4:5]
	v_fma_f64 v[4:5], s[20:21], v[214:215], v[60:61]
	v_add_f64 v[232:233], v[154:155], v[168:169]
	v_mul_f64 v[62:63], v[228:229], s[26:27]
	v_add_f64 v[12:13], v[156:157], -v[166:167]
	v_mul_f64 v[8:9], v[110:111], v[74:75]
	v_mul_f64 v[14:15], v[114:115], v[78:79]
	v_fmac_f64_e32 v[158:159], v[110:111], v[72:73]
	v_fmac_f64_e32 v[164:165], v[114:115], v[76:77]
	v_add_f64 v[0:1], v[4:5], v[0:1]
	v_fma_f64 v[4:5], v[232:233], s[20:21], -v[62:63]
	v_add_f64 v[222:223], v[124:125], v[134:135]
	v_mul_f64 v[106:107], v[12:13], s[30:31]
	v_add_f64 v[252:253], v[124:125], -v[134:135]
	v_fma_f64 v[126:127], v[108:109], v[72:73], -v[8:9]
	v_fma_f64 v[132:133], v[112:113], v[76:77], -v[14:15]
	v_add_f64 v[2:3], v[4:5], v[2:3]
	v_fma_f64 v[4:5], s[24:25], v[222:223], v[106:107]
	v_add_f64 v[236:237], v[156:157], v[166:167]
	v_mul_f64 v[204:205], v[252:253], s[30:31]
	v_add_f64 v[36:37], v[158:159], -v[164:165]
	v_add_f64 v[0:1], v[4:5], v[0:1]
	v_fma_f64 v[4:5], v[236:237], s[24:25], -v[204:205]
	v_add_f64 v[248:249], v[126:127], v[132:133]
	v_mul_f64 v[208:209], v[36:37], s[38:39]
	v_add_f64 v[2:3], v[4:5], v[2:3]
	v_fma_f64 v[4:5], s[28:29], v[248:249], v[208:209]
	v_add_f64 v[20:21], v[126:127], -v[132:133]
	v_add_f64 v[6:7], v[4:5], v[0:1]
	v_add_f64 v[0:1], v[158:159], v[164:165]
	v_mul_f64 v[216:217], v[20:21], s[38:39]
	v_fma_f64 v[128:129], v[128:129], v[88:89], -v[10:11]
	v_fma_f64 v[4:5], v[0:1], s[28:29], -v[216:217]
	v_add_f64 v[190:191], v[160:161], -v[162:163]
	v_add_f64 v[2:3], v[4:5], v[2:3]
	v_add_f64 v[4:5], v[128:129], v[130:131]
	v_mul_f64 v[218:219], v[190:191], s[42:43]
	v_fma_f64 v[8:9], s[34:35], v[4:5], v[218:219]
	v_add_f64 v[146:147], v[128:129], -v[130:131]
	v_add_f64 v[112:113], v[8:9], v[6:7]
	v_add_f64 v[8:9], v[160:161], v[162:163]
	v_mul_f64 v[220:221], v[146:147], s[42:43]
	v_fma_f64 v[6:7], v[8:9], s[34:35], -v[220:221]
	v_mul_f64 v[226:227], v[120:121], s[18:19]
	v_add_f64 v[114:115], v[6:7], v[2:3]
	v_fma_f64 v[2:3], s[14:15], v[192:193], v[226:227]
	v_mul_f64 v[230:231], v[212:213], s[30:31]
	v_add_f64 v[2:3], v[96:97], v[2:3]
	v_fma_f64 v[6:7], s[24:25], v[198:199], v[230:231]
	v_mul_f64 v[238:239], v[206:207], s[18:19]
	v_add_f64 v[2:3], v[6:7], v[2:3]
	v_fma_f64 v[6:7], v[122:123], s[14:15], -v[238:239]
	v_mul_f64 v[242:243], v[210:211], s[30:31]
	v_add_f64 v[6:7], v[98:99], v[6:7]
	v_fma_f64 v[10:11], v[224:225], s[24:25], -v[242:243]
	v_mul_f64 v[234:235], v[250:251], s[42:43]
	v_add_f64 v[6:7], v[10:11], v[6:7]
	v_fma_f64 v[10:11], s[34:35], v[214:215], v[234:235]
	v_mul_f64 v[246:247], v[228:229], s[42:43]
	v_add_f64 v[2:3], v[10:11], v[2:3]
	v_fma_f64 v[10:11], v[232:233], s[34:35], -v[246:247]
	v_mul_f64 v[240:241], v[12:13], s[36:37]
	v_add_f64 v[6:7], v[10:11], v[6:7]
	v_fma_f64 v[10:11], s[28:29], v[222:223], v[240:241]
	;; [unrolled: 6-line block ×3, first 2 shown]
	v_add_f64 v[14:15], v[6:7], v[2:3]
	v_mul_f64 v[6:7], v[20:21], s[44:45]
	v_fma_f64 v[2:3], v[0:1], s[20:21], -v[6:7]
	v_add_f64 v[16:17], v[2:3], v[10:11]
	v_mul_f64 v[2:3], v[190:191], s[40:41]
	v_fma_f64 v[10:11], s[2:3], v[4:5], v[2:3]
	v_add_f64 v[136:137], v[10:11], v[14:15]
	v_mul_f64 v[10:11], v[146:147], s[40:41]
	v_fma_f64 v[14:15], v[8:9], s[2:3], -v[10:11]
	v_add_f64 v[138:139], v[14:15], v[16:17]
	v_mul_f64 v[14:15], v[120:121], s[26:27]
	v_fma_f64 v[16:17], s[20:21], v[192:193], v[14:15]
	v_add_f64 v[18:19], v[96:97], v[16:17]
	v_mul_f64 v[16:17], v[212:213], s[42:43]
	v_accvgpr_write_b32 a55, v27
	v_fma_f64 v[22:23], s[34:35], v[198:199], v[16:17]
	v_accvgpr_write_b32 a54, v26
	v_accvgpr_write_b32 a53, v25
	;; [unrolled: 1-line block ×3, first 2 shown]
	v_add_f64 v[24:25], v[22:23], v[18:19]
	v_mul_f64 v[22:23], v[206:207], s[26:27]
	v_accvgpr_write_b32 a59, v31
	v_fma_f64 v[18:19], v[122:123], s[20:21], -v[22:23]
	v_mul_f64 v[26:27], v[210:211], s[42:43]
	v_accvgpr_write_b32 a58, v30
	v_accvgpr_write_b32 a57, v29
	;; [unrolled: 1-line block ×3, first 2 shown]
	v_add_f64 v[18:19], v[98:99], v[18:19]
	v_fma_f64 v[28:29], v[224:225], s[34:35], -v[26:27]
	v_add_f64 v[28:29], v[28:29], v[18:19]
	v_mul_f64 v[18:19], v[250:251], s[46:47]
	v_accvgpr_write_b32 a63, v35
	v_fma_f64 v[30:31], s[24:25], v[214:215], v[18:19]
	v_accvgpr_write_b32 a62, v34
	v_accvgpr_write_b32 a61, v33
	;; [unrolled: 1-line block ×3, first 2 shown]
	v_add_f64 v[32:33], v[30:31], v[24:25]
	v_mul_f64 v[30:31], v[228:229], s[46:47]
	v_fma_f64 v[24:25], v[232:233], s[24:25], -v[30:31]
	v_add_f64 v[28:29], v[24:25], v[28:29]
	v_mul_f64 v[24:25], v[12:13], s[40:41]
	v_fma_f64 v[34:35], s[2:3], v[222:223], v[24:25]
	v_add_f64 v[32:33], v[34:35], v[32:33]
	v_mul_f64 v[34:35], v[252:253], s[40:41]
	v_fma_f64 v[38:39], v[236:237], s[2:3], -v[34:35]
	v_add_f64 v[100:101], v[38:39], v[28:29]
	v_mul_f64 v[28:29], v[36:37], s[18:19]
	v_fma_f64 v[38:39], s[14:15], v[248:249], v[28:29]
	;; [unrolled: 6-line block ×3, first 2 shown]
	v_mul_f64 v[188:189], v[146:147], s[38:39]
	v_add_f64 v[140:141], v[104:105], v[102:103]
	v_fma_f64 v[102:103], v[8:9], s[28:29], -v[188:189]
	v_add_f64 v[142:143], v[102:103], v[100:101]
	s_and_saveexec_b64 s[22:23], s[0:1]
	s_cbranch_execz .LBB0_9
; %bb.8:
	v_mul_f64 v[48:49], v[192:193], s[2:3]
	v_accvgpr_write_b32 a69, v49
	v_accvgpr_write_b32 a68, v48
	v_mul_f64 v[48:49], v[122:123], s[2:3]
	v_accvgpr_write_b32 a73, v49
	v_accvgpr_write_b32 a72, v48
	;; [unrolled: 3-line block ×7, first 2 shown]
	v_accvgpr_write_b32 a49, v201
	v_accvgpr_write_b32 a50, v202
	;; [unrolled: 1-line block ×3, first 2 shown]
	v_mul_f64 v[200:201], v[122:123], s[34:35]
	s_mov_b32 s49, 0x3fcea1e5
	s_mov_b32 s48, s42
	v_accvgpr_write_b32 a99, v59
	v_accvgpr_write_b32 a70, v48
	v_mul_f64 v[48:49], v[224:225], s[14:15]
	v_mov_b32_e32 v149, v194
	v_accvgpr_write_b32 a42, v195
	v_mul_f64 v[194:195], v[224:225], s[2:3]
	v_fma_f64 v[202:203], s[48:49], v[206:207], v[200:201]
	v_accvgpr_write_b32 a91, v55
	v_accvgpr_write_b32 a98, v58
	v_mul_f64 v[58:59], v[120:121], s[42:43]
	v_accvgpr_write_b32 a93, v61
	v_accvgpr_write_b32 a75, v49
	v_mul_f64 v[116:117], v[232:233], s[28:29]
	v_accvgpr_write_b32 a45, v196
	v_accvgpr_write_b32 a46, v197
	v_fma_f64 v[196:197], s[16:17], v[210:211], v[194:195]
	v_add_f64 v[202:203], v[98:99], v[202:203]
	v_accvgpr_write_b32 a83, v51
	v_accvgpr_write_b32 a90, v54
	v_mul_f64 v[54:55], v[212:213], s[40:41]
	v_accvgpr_write_b32 a97, v57
	v_accvgpr_write_b32 a92, v60
	v_fma_f64 v[60:61], s[34:35], v[192:193], v[58:59]
	v_accvgpr_write_b32 a74, v48
	v_mul_f64 v[48:49], v[198:199], s[24:25]
	v_accvgpr_write_b32 a80, v106
	v_mul_f64 v[108:109], v[236:237], s[14:15]
	v_fma_f64 v[118:119], s[36:37], v[228:229], v[116:117]
	v_add_f64 v[196:197], v[196:197], v[202:203]
	s_mov_b32 s51, 0x3fea55e2
	s_mov_b32 s50, s18
	v_accvgpr_write_b32 a82, v50
	v_mul_f64 v[50:51], v[250:251], s[38:39]
	v_accvgpr_write_b32 a89, v53
	v_accvgpr_write_b32 a96, v56
	v_fma_f64 v[56:57], s[2:3], v[198:199], v[54:55]
	v_add_f64 v[60:61], v[96:97], v[60:61]
	v_accvgpr_write_b32 a79, v49
	v_accvgpr_write_b32 a81, v107
	v_mul_f64 v[106:107], v[0:1], s[24:25]
	v_fma_f64 v[110:111], s[18:19], v[252:253], v[108:109]
	v_add_f64 v[118:119], v[118:119], v[196:197]
	v_mul_f64 v[202:203], v[12:13], s[50:51]
	v_accvgpr_write_b32 a88, v52
	v_fma_f64 v[52:53], s[28:29], v[214:215], v[50:51]
	v_add_f64 v[56:57], v[56:57], v[60:61]
	v_accvgpr_write_b32 a78, v48
	v_mul_f64 v[104:105], v[8:9], s[20:21]
	v_fma_f64 v[102:103], s[46:47], v[20:21], v[106:107]
	v_add_f64 v[110:111], v[110:111], v[118:119]
	v_mul_f64 v[118:119], v[36:37], s[30:31]
	v_fma_f64 v[48:49], s[14:15], v[222:223], v[202:203]
	v_add_f64 v[52:53], v[52:53], v[56:57]
	v_fma_f64 v[100:101], s[26:27], v[146:147], v[104:105]
	v_add_f64 v[102:103], v[102:103], v[110:111]
	v_mul_f64 v[110:111], v[190:191], s[44:45]
	v_fma_f64 v[196:197], s[24:25], v[248:249], v[118:119]
	v_add_f64 v[48:49], v[48:49], v[52:53]
	v_add_f64 v[102:103], v[100:101], v[102:103]
	v_fma_f64 v[100:101], s[20:21], v[4:5], v[110:111]
	v_add_f64 v[48:49], v[196:197], v[48:49]
	v_fmac_f64_e32 v[200:201], s[42:43], v[206:207]
	v_add_f64 v[100:101], v[100:101], v[48:49]
	v_fmac_f64_e32 v[194:195], s[40:41], v[210:211]
	;; [unrolled: 2-line block ×5, first 2 shown]
	v_add_f64 v[48:49], v[108:109], v[48:49]
	v_fma_f64 v[58:59], v[192:193], s[34:35], -v[58:59]
	v_fmac_f64_e32 v[104:105], s[44:45], v[146:147]
	v_add_f64 v[48:49], v[106:107], v[48:49]
	v_fma_f64 v[52:53], v[248:249], s[24:25], -v[118:119]
	v_fma_f64 v[54:55], v[198:199], s[2:3], -v[54:55]
	v_add_f64 v[58:59], v[96:97], v[58:59]
	v_mul_f64 v[118:119], v[122:123], s[28:29]
	v_add_f64 v[106:107], v[104:105], v[48:49]
	v_fma_f64 v[48:49], v[4:5], s[20:21], -v[110:111]
	v_fma_f64 v[50:51], v[214:215], s[28:29], -v[50:51]
	v_add_f64 v[54:55], v[54:55], v[58:59]
	v_mul_f64 v[116:117], v[224:225], s[20:21]
	v_fma_f64 v[110:111], s[36:37], v[206:207], v[118:119]
	v_fmac_f64_e32 v[118:119], s[38:39], v[206:207]
	v_fma_f64 v[56:57], v[222:223], s[14:15], -v[202:203]
	v_add_f64 v[50:51], v[50:51], v[54:55]
	v_mul_f64 v[60:61], v[232:233], s[14:15]
	v_accvgpr_write_b32 a101, v63
	v_fma_f64 v[108:109], s[26:27], v[210:211], v[116:117]
	v_add_f64 v[110:111], v[98:99], v[110:111]
	v_fmac_f64_e32 v[116:117], s[44:45], v[210:211]
	v_add_f64 v[118:119], v[98:99], v[118:119]
	v_add_f64 v[50:51], v[56:57], v[50:51]
	v_mul_f64 v[56:57], v[236:237], s[34:35]
	v_accvgpr_write_b32 a100, v62
	v_fma_f64 v[62:63], s[50:51], v[228:229], v[60:61]
	v_add_f64 v[108:109], v[108:109], v[110:111]
	v_mul_f64 v[196:197], v[120:121], s[38:39]
	v_add_f64 v[116:117], v[116:117], v[118:119]
	v_fmac_f64_e32 v[60:61], s[18:19], v[228:229]
	v_add_f64 v[50:51], v[52:53], v[50:51]
	v_mul_f64 v[52:53], v[0:1], s[2:3]
	v_fma_f64 v[58:59], s[42:43], v[252:253], v[56:57]
	v_add_f64 v[62:63], v[62:63], v[108:109]
	v_mul_f64 v[194:195], v[212:213], s[44:45]
	v_fma_f64 v[200:201], s[28:29], v[192:193], v[196:197]
	v_add_f64 v[60:61], v[60:61], v[116:117]
	v_fmac_f64_e32 v[56:57], s[48:49], v[252:253]
	v_add_f64 v[104:105], v[48:49], v[50:51]
	v_mul_f64 v[48:49], v[8:9], s[24:25]
	v_fma_f64 v[54:55], s[16:17], v[20:21], v[52:53]
	v_add_f64 v[58:59], v[58:59], v[62:63]
	v_mul_f64 v[62:63], v[250:251], s[18:19]
	v_fma_f64 v[108:109], s[20:21], v[198:199], v[194:195]
	v_add_f64 v[200:201], v[96:97], v[200:201]
	v_fmac_f64_e32 v[52:53], s[40:41], v[20:21]
	v_add_f64 v[56:57], v[56:57], v[60:61]
	v_fma_f64 v[50:51], s[46:47], v[146:147], v[48:49]
	v_add_f64 v[54:55], v[54:55], v[58:59]
	v_mul_f64 v[58:59], v[12:13], s[48:49]
	v_add_f64 v[108:109], v[108:109], v[200:201]
	v_fma_f64 v[200:201], s[14:15], v[214:215], v[62:63]
	v_fmac_f64_e32 v[48:49], s[30:31], v[146:147]
	v_add_f64 v[52:53], v[52:53], v[56:57]
	v_add_f64 v[110:111], v[50:51], v[54:55]
	v_mul_f64 v[54:55], v[36:37], s[40:41]
	v_add_f64 v[108:109], v[200:201], v[108:109]
	v_fma_f64 v[200:201], s[34:35], v[222:223], v[58:59]
	v_add_f64 v[118:119], v[48:49], v[52:53]
	v_fma_f64 v[52:53], v[222:223], s[34:35], -v[58:59]
	v_fma_f64 v[58:59], v[192:193], s[28:29], -v[196:197]
	v_mul_f64 v[50:51], v[190:191], s[30:31]
	v_add_f64 v[108:109], v[200:201], v[108:109]
	v_fma_f64 v[200:201], s[2:3], v[248:249], v[54:55]
	v_fma_f64 v[56:57], v[198:199], s[20:21], -v[194:195]
	v_add_f64 v[58:59], v[96:97], v[58:59]
	v_mul_f64 v[194:195], v[122:123], s[24:25]
	v_add_f64 v[108:109], v[200:201], v[108:109]
	v_fma_f64 v[200:201], s[24:25], v[4:5], v[50:51]
	v_fma_f64 v[48:49], v[4:5], s[24:25], -v[50:51]
	v_fma_f64 v[50:51], v[248:249], s[2:3], -v[54:55]
	;; [unrolled: 1-line block ×3, first 2 shown]
	v_add_f64 v[56:57], v[56:57], v[58:59]
	v_mul_f64 v[60:61], v[224:225], s[28:29]
	v_fma_f64 v[122:123], s[46:47], v[206:207], v[194:195]
	v_add_f64 v[54:55], v[54:55], v[56:57]
	v_mul_f64 v[58:59], v[232:233], s[2:3]
	v_fma_f64 v[62:63], s[38:39], v[210:211], v[60:61]
	v_add_f64 v[122:123], v[98:99], v[122:123]
	v_mul_f64 v[116:117], v[214:215], s[20:21]
	v_add_f64 v[52:53], v[52:53], v[54:55]
	v_mul_f64 v[56:57], v[236:237], s[20:21]
	v_add_f64 v[62:63], v[62:63], v[122:123]
	v_fma_f64 v[122:123], s[16:17], v[228:229], v[58:59]
	v_accvgpr_write_b32 a102, v116
	v_add_f64 v[50:51], v[50:51], v[52:53]
	v_mul_f64 v[52:53], v[0:1], s[34:35]
	v_add_f64 v[62:63], v[122:123], v[62:63]
	v_fma_f64 v[122:123], s[44:45], v[252:253], v[56:57]
	v_accvgpr_write_b32 a103, v117
	v_add_f64 v[116:117], v[48:49], v[50:51]
	v_mul_f64 v[48:49], v[8:9], s[14:15]
	v_fma_f64 v[54:55], s[42:43], v[20:21], v[52:53]
	v_add_f64 v[62:63], v[122:123], v[62:63]
	v_mul_f64 v[196:197], v[120:121], s[30:31]
	v_fma_f64 v[50:51], s[18:19], v[146:147], v[48:49]
	;; [unrolled: 3-line block ×3, first 2 shown]
	v_add_f64 v[122:123], v[50:51], v[54:55]
	v_mul_f64 v[50:51], v[190:191], s[50:51]
	v_mul_f64 v[54:55], v[250:251], s[40:41]
	v_fma_f64 v[190:191], s[28:29], v[198:199], v[62:63]
	v_add_f64 v[120:121], v[96:97], v[120:121]
	v_mul_f64 v[12:13], v[12:13], s[26:27]
	v_add_f64 v[120:121], v[190:191], v[120:121]
	v_fma_f64 v[190:191], s[2:3], v[214:215], v[54:55]
	v_mul_f64 v[36:37], v[36:37], s[48:49]
	v_add_f64 v[120:121], v[190:191], v[120:121]
	v_fma_f64 v[190:191], s[20:21], v[222:223], v[12:13]
	v_add_f64 v[120:121], v[190:191], v[120:121]
	v_fma_f64 v[190:191], s[34:35], v[248:249], v[36:37]
	;; [unrolled: 2-line block ×3, first 2 shown]
	v_fmac_f64_e32 v[194:195], s[30:31], v[206:207]
	v_add_f64 v[120:121], v[190:191], v[120:121]
	v_fmac_f64_e32 v[60:61], s[36:37], v[210:211]
	v_add_f64 v[190:191], v[98:99], v[194:195]
	;; [unrolled: 2-line block ×3, first 2 shown]
	v_fmac_f64_e32 v[52:53], s[48:49], v[20:21]
	v_mul_f64 v[20:21], v[232:233], s[24:25]
	v_fmac_f64_e32 v[56:57], s[26:27], v[252:253]
	v_add_f64 v[58:59], v[58:59], v[60:61]
	v_fma_f64 v[190:191], v[192:193], s[24:25], -v[196:197]
	v_add_f64 v[56:57], v[56:57], v[58:59]
	v_fma_f64 v[62:63], v[198:199], s[28:29], -v[62:63]
	v_add_f64 v[190:191], v[96:97], v[190:191]
	v_add_f64 v[20:21], v[30:31], v[20:21]
	v_accvgpr_read_b32 v30, a94
	v_fmac_f64_e32 v[48:49], s[50:51], v[146:147]
	v_add_f64 v[52:53], v[52:53], v[56:57]
	v_fma_f64 v[54:55], v[214:215], s[2:3], -v[54:55]
	v_add_f64 v[62:63], v[62:63], v[190:191]
	v_accvgpr_read_b32 v31, a95
	v_accvgpr_write_b32 a43, v172
	v_accvgpr_write_b32 a44, v173
	v_mul_f64 v[172:173], v[224:225], s[34:35]
	v_fma_f64 v[12:13], v[222:223], s[20:21], -v[12:13]
	v_add_f64 v[192:193], v[48:49], v[52:53]
	v_add_f64 v[48:49], v[54:55], v[62:63]
	v_add_f64 v[22:23], v[22:23], v[30:31]
	v_fma_f64 v[36:37], v[248:249], s[34:35], -v[36:37]
	v_add_f64 v[12:13], v[12:13], v[48:49]
	v_add_f64 v[26:27], v[26:27], v[172:173]
	;; [unrolled: 1-line block ×3, first 2 shown]
	v_mul_f64 v[228:229], v[236:237], s[24:25]
	v_mul_f64 v[206:207], v[236:237], s[28:29]
	;; [unrolled: 1-line block ×3, first 2 shown]
	v_fma_f64 v[50:51], v[4:5], s[14:15], -v[50:51]
	v_add_f64 v[12:13], v[36:37], v[12:13]
	v_add_f64 v[22:23], v[26:27], v[22:23]
	v_mul_f64 v[212:213], v[232:233], s[20:21]
	v_mul_f64 v[146:147], v[232:233], s[34:35]
	;; [unrolled: 1-line block ×8, first 2 shown]
	v_add_f64 v[190:191], v[50:51], v[12:13]
	v_add_f64 v[12:13], v[34:35], v[236:237]
	;; [unrolled: 1-line block ×3, first 2 shown]
	v_mul_f64 v[250:251], v[214:215], s[24:25]
	v_add_f64 v[0:1], v[38:39], v[0:1]
	v_add_f64 v[12:13], v[12:13], v[20:21]
	;; [unrolled: 1-line block ×3, first 2 shown]
	v_add_f64 v[12:13], v[250:251], -v[18:19]
	v_accvgpr_read_b32 v18, a86
	v_accvgpr_read_b32 v19, a87
	v_mul_f64 v[202:203], v[198:199], s[34:35]
	v_add_f64 v[14:15], v[18:19], -v[14:15]
	v_mul_f64 v[198:199], v[8:9], s[34:35]
	v_mul_f64 v[252:253], v[8:9], s[2:3]
	;; [unrolled: 1-line block ×3, first 2 shown]
	v_add_f64 v[16:17], v[202:203], -v[16:17]
	v_add_f64 v[14:15], v[96:97], v[14:15]
	v_add_f64 v[8:9], v[188:189], v[8:9]
	;; [unrolled: 1-line block ×4, first 2 shown]
	v_add_f64 v[8:9], v[194:195], -v[24:25]
	v_add_f64 v[12:13], v[12:13], v[14:15]
	v_add_f64 v[108:109], v[200:201], v[108:109]
	v_mul_f64 v[200:201], v[224:225], s[24:25]
	v_mul_f64 v[224:225], v[214:215], s[34:35]
	;; [unrolled: 1-line block ×8, first 2 shown]
	v_add_f64 v[8:9], v[8:9], v[12:13]
	v_accvgpr_read_b32 v12, a84
	v_add_f64 v[0:1], v[4:5], -v[32:33]
	v_add_f64 v[4:5], v[248:249], -v[28:29]
	v_accvgpr_read_b32 v13, a85
	v_add_f64 v[4:5], v[4:5], v[8:9]
	v_add_f64 v[12:13], v[238:239], v[12:13]
	;; [unrolled: 1-line block ×8, first 2 shown]
	v_accvgpr_read_b32 v12, a76
	v_add_f64 v[8:9], v[8:9], v[10:11]
	v_accvgpr_read_b32 v10, a78
	v_accvgpr_read_b32 v13, a77
	;; [unrolled: 1-line block ×3, first 2 shown]
	v_add_f64 v[12:13], v[12:13], -v[226:227]
	v_add_f64 v[10:11], v[10:11], -v[230:231]
	v_add_f64 v[12:13], v[96:97], v[12:13]
	v_add_f64 v[10:11], v[10:11], v[12:13]
	v_accvgpr_read_b32 v12, a74
	v_accvgpr_read_b32 v14, a98
	;; [unrolled: 1-line block ×4, first 2 shown]
	v_add_f64 v[4:5], v[6:7], v[222:223]
	v_add_f64 v[6:7], v[254:255], v[206:207]
	;; [unrolled: 1-line block ×3, first 2 shown]
	v_accvgpr_read_b32 v14, a72
	v_accvgpr_read_b32 v16, a96
	v_add_f64 v[6:7], v[6:7], v[8:9]
	v_add_f64 v[8:9], v[224:225], -v[234:235]
	v_accvgpr_read_b32 v15, a73
	v_accvgpr_read_b32 v17, a97
	v_add_f64 v[8:9], v[8:9], v[10:11]
	v_accvgpr_read_b32 v10, a100
	v_add_f64 v[14:15], v[16:17], v[14:15]
	;; [unrolled: 2-line block ×3, first 2 shown]
	v_add_f64 v[10:11], v[10:11], v[212:213]
	v_add_f64 v[12:13], v[12:13], v[14:15]
	;; [unrolled: 1-line block ×3, first 2 shown]
	v_accvgpr_read_b32 v12, a92
	v_accvgpr_read_b32 v14, a102
	;; [unrolled: 1-line block ×4, first 2 shown]
	v_add_f64 v[12:13], v[14:15], -v[12:13]
	v_accvgpr_read_b32 v14, a70
	v_accvgpr_read_b32 v16, a90
	;; [unrolled: 1-line block ×4, first 2 shown]
	v_add_f64 v[14:15], v[14:15], -v[16:17]
	v_accvgpr_read_b32 v16, a68
	v_accvgpr_read_b32 v22, a88
	v_add_f64 v[4:5], v[4:5], v[6:7]
	v_add_f64 v[6:7], v[210:211], -v[240:241]
	v_accvgpr_read_b32 v17, a69
	v_accvgpr_read_b32 v23, a89
	v_add_f64 v[6:7], v[6:7], v[8:9]
	v_add_f64 v[8:9], v[204:205], v[228:229]
	v_add_f64 v[16:17], v[16:17], -v[22:23]
	v_add_f64 v[4:5], v[0:1], v[4:5]
	v_add_f64 v[0:1], v[196:197], -v[2:3]
	v_add_f64 v[2:3], v[56:57], -v[244:245]
	v_add_f64 v[8:9], v[8:9], v[10:11]
	v_accvgpr_read_b32 v10, a80
	v_add_f64 v[16:17], v[96:97], v[16:17]
	v_add_f64 v[2:3], v[2:3], v[6:7]
	;; [unrolled: 1-line block ×3, first 2 shown]
	v_accvgpr_read_b32 v11, a81
	v_add_f64 v[14:15], v[14:15], v[16:17]
	v_add_f64 v[2:3], v[0:1], v[2:3]
	v_add_f64 v[0:1], v[220:221], v[198:199]
	v_add_f64 v[6:7], v[6:7], v[8:9]
	v_add_f64 v[10:11], v[232:233], -v[10:11]
	v_add_f64 v[12:13], v[12:13], v[14:15]
	v_add_f64 v[8:9], v[0:1], v[6:7]
	v_add_f64 v[6:7], v[60:61], -v[208:209]
	v_add_f64 v[10:11], v[10:11], v[12:13]
	v_add_f64 v[0:1], v[214:215], -v[218:219]
	v_add_f64 v[6:7], v[6:7], v[10:11]
	v_add_f64 v[6:7], v[0:1], v[6:7]
	;; [unrolled: 1-line block ×14, first 2 shown]
	v_accvgpr_read_b32 v0, a82
	v_accvgpr_read_b32 v1, a83
	v_add_f64 v[0:1], v[96:97], v[0:1]
	v_add_f64 v[0:1], v[0:1], v[174:175]
	;; [unrolled: 1-line block ×12, first 2 shown]
	v_accvgpr_read_b32 v0, a40
	v_mul_u32_u24_e32 v0, 0x4e, v0
	v_accvgpr_read_b32 v1, a41
	v_mov_b32_e32 v194, v149
	v_accvgpr_read_b32 v203, a51
	v_add_u32_e32 v0, v0, v1
	v_accvgpr_read_b32 v173, a44
	v_accvgpr_read_b32 v172, a43
	;; [unrolled: 1-line block ×8, first 2 shown]
	v_lshl_add_u32 v0, v0, 4, v194
	ds_write_b128 v0, v[10:13]
	ds_write_b128 v0, v[6:9] offset:96
	ds_write_b128 v0, v[2:5] offset:192
	;; [unrolled: 1-line block ×12, first 2 shown]
.LBB0_9:
	s_or_b64 exec, exec, s[22:23]
	v_lshlrev_b32_e32 v0, 4, v184
	v_mov_b32_e32 v1, 0
	v_lshl_add_u64 v[152:153], s[8:9], 0, v[0:1]
	v_lshlrev_b32_e32 v0, 6, v184
	s_waitcnt lgkmcnt(0)
	s_barrier
	global_load_dwordx4 v[108:111], v0, s[10:11] offset:1216
	global_load_dwordx4 v[104:107], v0, s[10:11] offset:1232
	global_load_dwordx4 v[100:103], v0, s[10:11] offset:1248
	global_load_dwordx4 v[96:99], v0, s[10:11] offset:1264
	ds_read_b128 v[120:123], v187
	ds_read_b128 v[116:119], v187 offset:1248
	ds_read_b128 v[2:5], v187 offset:2496
	;; [unrolled: 1-line block ×9, first 2 shown]
	s_mov_b32 s8, 0x134454ff
	s_mov_b32 s9, 0x3fee6f0e
	;; [unrolled: 1-line block ×10, first 2 shown]
	v_lshl_add_u64 v[0:1], s[10:11], 0, v[0:1]
	s_waitcnt lgkmcnt(0)
	s_barrier
	s_waitcnt vmcnt(3)
	v_mul_f64 v[34:35], v[4:5], v[110:111]
	s_waitcnt vmcnt(2)
	v_mul_f64 v[38:39], v[12:13], v[106:107]
	v_mul_f64 v[48:49], v[10:11], v[106:107]
	s_waitcnt vmcnt(1)
	v_mul_f64 v[50:51], v[20:21], v[102:103]
	;; [unrolled: 3-line block ×3, first 2 shown]
	v_mul_f64 v[56:57], v[26:27], v[98:99]
	v_fma_f64 v[34:35], v[2:3], v[108:109], -v[34:35]
	v_fma_f64 v[38:39], v[10:11], v[104:105], -v[38:39]
	v_fmac_f64_e32 v[48:49], v[12:13], v[104:105]
	v_fma_f64 v[12:13], v[18:19], v[100:101], -v[50:51]
	v_mul_f64 v[52:53], v[18:19], v[102:103]
	v_mul_f64 v[58:59], v[8:9], v[110:111]
	;; [unrolled: 1-line block ×4, first 2 shown]
	v_fmac_f64_e32 v[36:37], v[4:5], v[108:109]
	v_fma_f64 v[18:19], v[26:27], v[96:97], -v[54:55]
	v_fmac_f64_e32 v[56:57], v[28:29], v[96:97]
	v_add_f64 v[2:3], v[120:121], v[34:35]
	v_add_f64 v[4:5], v[38:39], v[12:13]
	v_mul_f64 v[124:125], v[14:15], v[106:107]
	v_mul_f64 v[126:127], v[24:25], v[102:103]
	v_fmac_f64_e32 v[52:53], v[20:21], v[100:101]
	v_fma_f64 v[28:29], v[6:7], v[108:109], -v[58:59]
	v_fmac_f64_e32 v[60:61], v[8:9], v[108:109]
	v_fmac_f64_e32 v[128:129], v[24:25], v[100:101]
	v_add_f64 v[8:9], v[36:37], -v[56:57]
	v_add_f64 v[6:7], v[34:35], -v[38:39]
	;; [unrolled: 1-line block ×3, first 2 shown]
	v_add_f64 v[24:25], v[2:3], v[38:39]
	v_fma_f64 v[2:3], -0.5, v[4:5], v[120:121]
	v_mul_f64 v[62:63], v[16:17], v[106:107]
	v_fmac_f64_e32 v[124:125], v[16:17], v[104:105]
	v_add_f64 v[16:17], v[48:49], -v[52:53]
	v_add_f64 v[4:5], v[6:7], v[10:11]
	v_fma_f64 v[6:7], s[8:9], v[8:9], v[2:3]
	v_fmac_f64_e32 v[2:3], s[16:17], v[8:9]
	v_fmac_f64_e32 v[6:7], s[2:3], v[16:17]
	v_fmac_f64_e32 v[2:3], s[18:19], v[16:17]
	v_fmac_f64_e32 v[6:7], s[14:15], v[4:5]
	v_fmac_f64_e32 v[2:3], s[14:15], v[4:5]
	v_add_f64 v[4:5], v[122:123], v[36:37]
	v_fma_f64 v[50:51], v[14:15], v[104:105], -v[62:63]
	v_add_f64 v[14:15], v[34:35], v[18:19]
	v_add_f64 v[4:5], v[4:5], v[48:49]
	v_fmac_f64_e32 v[120:121], -0.5, v[14:15]
	v_add_f64 v[4:5], v[4:5], v[52:53]
	v_fma_f64 v[54:55], v[22:23], v[100:101], -v[126:127]
	v_add_f64 v[20:21], v[38:39], -v[34:35]
	v_add_f64 v[22:23], v[12:13], -v[18:19]
	v_add_f64 v[14:15], v[24:25], v[12:13]
	v_fma_f64 v[10:11], s[16:17], v[16:17], v[120:121]
	v_fmac_f64_e32 v[120:121], s[8:9], v[16:17]
	v_add_f64 v[16:17], v[4:5], v[56:57]
	v_add_f64 v[4:5], v[48:49], v[52:53]
	;; [unrolled: 1-line block ×4, first 2 shown]
	v_fmac_f64_e32 v[10:11], s[2:3], v[8:9]
	v_fmac_f64_e32 v[120:121], s[18:19], v[8:9]
	v_fma_f64 v[4:5], -0.5, v[4:5], v[122:123]
	v_add_f64 v[18:19], v[34:35], -v[18:19]
	v_fmac_f64_e32 v[10:11], s[14:15], v[20:21]
	v_fmac_f64_e32 v[120:121], s[14:15], v[20:21]
	v_fma_f64 v[8:9], s[16:17], v[18:19], v[4:5]
	v_add_f64 v[20:21], v[38:39], -v[12:13]
	v_add_f64 v[12:13], v[36:37], -v[48:49]
	;; [unrolled: 1-line block ×3, first 2 shown]
	v_fmac_f64_e32 v[4:5], s[8:9], v[18:19]
	v_fmac_f64_e32 v[8:9], s[18:19], v[20:21]
	v_add_f64 v[12:13], v[12:13], v[22:23]
	v_fmac_f64_e32 v[4:5], s[2:3], v[20:21]
	v_fmac_f64_e32 v[8:9], s[14:15], v[12:13]
	;; [unrolled: 1-line block ×3, first 2 shown]
	v_add_f64 v[12:13], v[36:37], v[56:57]
	v_fmac_f64_e32 v[122:123], -0.5, v[12:13]
	v_mul_f64 v[132:133], v[30:31], v[98:99]
	v_fma_f64 v[12:13], s[8:9], v[20:21], v[122:123]
	v_add_f64 v[22:23], v[48:49], -v[36:37]
	v_add_f64 v[24:25], v[52:53], -v[56:57]
	v_fmac_f64_e32 v[122:123], s[16:17], v[20:21]
	v_mul_f64 v[130:131], v[32:33], v[98:99]
	v_fmac_f64_e32 v[132:133], v[32:33], v[96:97]
	v_fmac_f64_e32 v[12:13], s[18:19], v[18:19]
	v_add_f64 v[22:23], v[22:23], v[24:25]
	v_fmac_f64_e32 v[122:123], s[2:3], v[18:19]
	v_add_f64 v[20:21], v[50:51], v[54:55]
	v_fma_f64 v[58:59], v[30:31], v[96:97], -v[130:131]
	v_fmac_f64_e32 v[12:13], s[14:15], v[22:23]
	v_fmac_f64_e32 v[122:123], s[14:15], v[22:23]
	v_fma_f64 v[22:23], -0.5, v[20:21], v[116:117]
	v_add_f64 v[20:21], v[60:61], -v[132:133]
	v_fma_f64 v[26:27], s[8:9], v[20:21], v[22:23]
	v_add_f64 v[24:25], v[124:125], -v[128:129]
	v_add_f64 v[30:31], v[28:29], -v[50:51]
	v_add_f64 v[32:33], v[58:59], -v[54:55]
	v_fmac_f64_e32 v[22:23], s[16:17], v[20:21]
	v_fmac_f64_e32 v[26:27], s[2:3], v[24:25]
	v_add_f64 v[30:31], v[30:31], v[32:33]
	v_fmac_f64_e32 v[22:23], s[18:19], v[24:25]
	v_fmac_f64_e32 v[26:27], s[14:15], v[30:31]
	;; [unrolled: 1-line block ×3, first 2 shown]
	v_add_f64 v[30:31], v[28:29], v[58:59]
	v_add_f64 v[18:19], v[116:117], v[28:29]
	v_fmac_f64_e32 v[116:117], -0.5, v[30:31]
	v_fma_f64 v[30:31], s[16:17], v[24:25], v[116:117]
	v_add_f64 v[32:33], v[50:51], -v[28:29]
	v_add_f64 v[34:35], v[54:55], -v[58:59]
	v_fmac_f64_e32 v[116:117], s[8:9], v[24:25]
	v_add_f64 v[24:25], v[124:125], v[128:129]
	v_fmac_f64_e32 v[30:31], s[2:3], v[20:21]
	v_add_f64 v[32:33], v[32:33], v[34:35]
	v_fmac_f64_e32 v[116:117], s[18:19], v[20:21]
	v_fma_f64 v[24:25], -0.5, v[24:25], v[118:119]
	v_add_f64 v[34:35], v[28:29], -v[58:59]
	v_fmac_f64_e32 v[30:31], s[14:15], v[32:33]
	v_fmac_f64_e32 v[116:117], s[14:15], v[32:33]
	v_fma_f64 v[28:29], s[16:17], v[34:35], v[24:25]
	v_add_f64 v[36:37], v[50:51], -v[54:55]
	v_add_f64 v[32:33], v[60:61], -v[124:125]
	;; [unrolled: 1-line block ×3, first 2 shown]
	v_fmac_f64_e32 v[24:25], s[8:9], v[34:35]
	v_fmac_f64_e32 v[28:29], s[18:19], v[36:37]
	v_add_f64 v[32:33], v[32:33], v[38:39]
	v_fmac_f64_e32 v[24:25], s[2:3], v[36:37]
	v_fmac_f64_e32 v[28:29], s[14:15], v[32:33]
	;; [unrolled: 1-line block ×3, first 2 shown]
	v_add_f64 v[32:33], v[60:61], v[132:133]
	v_add_f64 v[20:21], v[118:119], v[60:61]
	v_fmac_f64_e32 v[118:119], -0.5, v[32:33]
	v_add_f64 v[18:19], v[18:19], v[50:51]
	v_add_f64 v[20:21], v[20:21], v[124:125]
	v_fma_f64 v[32:33], s[8:9], v[36:37], v[118:119]
	v_add_f64 v[38:39], v[124:125], -v[60:61]
	v_add_f64 v[48:49], v[128:129], -v[132:133]
	v_fmac_f64_e32 v[118:119], s[16:17], v[36:37]
	v_add_f64 v[18:19], v[18:19], v[54:55]
	v_add_f64 v[20:21], v[20:21], v[128:129]
	v_fmac_f64_e32 v[32:33], s[18:19], v[34:35]
	v_add_f64 v[38:39], v[38:39], v[48:49]
	v_fmac_f64_e32 v[118:119], s[2:3], v[34:35]
	v_add_f64 v[18:19], v[18:19], v[58:59]
	v_add_f64 v[20:21], v[20:21], v[132:133]
	v_fmac_f64_e32 v[32:33], s[14:15], v[38:39]
	v_fmac_f64_e32 v[118:119], s[14:15], v[38:39]
	ds_write_b128 v187, v[14:17]
	ds_write_b128 v187, v[6:9] offset:1248
	ds_write_b128 v187, v[10:13] offset:2496
	;; [unrolled: 1-line block ×9, first 2 shown]
	v_mul_hi_i32_i24_e32 v3, 0xffffffd0, v184
	v_mul_i32_i24_e32 v2, 0xffffffd0, v184
	v_lshl_add_u64 v[0:1], v[0:1], 0, v[2:3]
	s_movk_i32 s2, 0x1000
	v_add_co_u32_e64 v2, s[2:3], s2, v0
	s_waitcnt lgkmcnt(0)
	s_nop 0
	v_addc_co_u32_e64 v3, s[2:3], 0, v1, s[2:3]
	s_barrier
	global_load_dwordx4 v[116:119], v[2:3], off offset:2112
	global_load_dwordx4 v[120:123], v[2:3], off offset:3360
	s_movk_i32 s2, 0x2000
	v_add_co_u32_e64 v0, s[2:3], s2, v0
	s_nop 1
	v_addc_co_u32_e64 v1, s[2:3], 0, v1, s[2:3]
	global_load_dwordx4 v[124:127], v[0:1], off offset:512
	global_load_dwordx4 v[128:131], v[0:1], off offset:1760
	;; [unrolled: 1-line block ×3, first 2 shown]
	ds_read_b128 v[2:5], v187 offset:6240
	ds_read_b128 v[6:9], v187
	ds_read_b128 v[10:13], v187 offset:1248
	ds_read_b128 v[14:17], v187 offset:7488
	;; [unrolled: 1-line block ×8, first 2 shown]
	v_accvgpr_read_b32 v0, a66
	v_lshl_add_u32 v0, v0, 4, v148
	s_movk_i32 s2, 0x3000
	v_accvgpr_read_b32 v1, a67
	s_waitcnt vmcnt(4) lgkmcnt(9)
	v_mul_f64 v[38:39], v[4:5], v[118:119]
	v_fma_f64 v[38:39], v[2:3], v[116:117], -v[38:39]
	v_mul_f64 v[48:49], v[2:3], v[118:119]
	s_waitcnt vmcnt(3) lgkmcnt(6)
	v_mul_f64 v[2:3], v[16:17], v[122:123]
	v_fma_f64 v[50:51], v[14:15], v[120:121], -v[2:3]
	v_fmac_f64_e32 v[48:49], v[4:5], v[116:117]
	s_waitcnt vmcnt(2) lgkmcnt(5)
	v_mul_f64 v[2:3], v[20:21], v[126:127]
	v_fma_f64 v[54:55], v[18:19], v[124:125], -v[2:3]
	s_waitcnt vmcnt(1) lgkmcnt(1)
	v_mul_f64 v[2:3], v[36:37], v[130:131]
	v_mul_f64 v[52:53], v[14:15], v[122:123]
	;; [unrolled: 1-line block ×3, first 2 shown]
	v_fma_f64 v[58:59], v[34:35], v[128:129], -v[2:3]
	v_mul_f64 v[60:61], v[34:35], v[130:131]
	s_waitcnt vmcnt(0) lgkmcnt(0)
	v_mul_f64 v[2:3], v[146:147], v[134:135]
	v_mul_f64 v[148:149], v[144:145], v[134:135]
	v_fmac_f64_e32 v[52:53], v[16:17], v[120:121]
	v_fmac_f64_e32 v[56:57], v[20:21], v[124:125]
	v_fmac_f64_e32 v[60:61], v[36:37], v[128:129]
	v_fma_f64 v[62:63], v[144:145], v[132:133], -v[2:3]
	v_fmac_f64_e32 v[148:149], v[146:147], v[132:133]
	v_add_f64 v[2:3], v[6:7], -v[38:39]
	v_add_f64 v[4:5], v[8:9], -v[48:49]
	v_fma_f64 v[6:7], v[6:7], 2.0, -v[2:3]
	v_fma_f64 v[8:9], v[8:9], 2.0, -v[4:5]
	v_add_f64 v[14:15], v[10:11], -v[50:51]
	v_add_f64 v[16:17], v[12:13], -v[52:53]
	;; [unrolled: 1-line block ×8, first 2 shown]
	v_fma_f64 v[10:11], v[10:11], 2.0, -v[14:15]
	v_fma_f64 v[12:13], v[12:13], 2.0, -v[16:17]
	;; [unrolled: 1-line block ×8, first 2 shown]
	ds_write_b128 v187, v[6:9]
	ds_write_b128 v187, v[2:5] offset:6240
	ds_write_b128 v187, v[10:13] offset:1248
	;; [unrolled: 1-line block ×9, first 2 shown]
	v_add_co_u32_e64 v2, s[2:3], s2, v152
	s_waitcnt lgkmcnt(0)
	s_nop 0
	v_addc_co_u32_e64 v3, s[2:3], 0, v153, s[2:3]
	s_movk_i32 s2, 0x4000
	s_nop 0
	v_add_co_u32_e64 v26, s[2:3], s2, v152
	s_barrier
	global_load_dwordx4 v[144:147], v[2:3], off offset:192
	v_addc_co_u32_e64 v27, s[2:3], 0, v153, s[2:3]
	global_load_dwordx4 v[148:151], v[26:27], off offset:2336
	s_mov_b64 s[2:3], 0x30c0
	v_lshl_add_u64 v[18:19], v[152:153], 0, s[2:3]
	global_load_dwordx4 v[2:5], v[18:19], off offset:1248
	global_load_dwordx4 v[6:9], v[26:27], off offset:3584
	;; [unrolled: 1-line block ×3, first 2 shown]
	s_movk_i32 s2, 0x5000
	v_add_co_u32_e64 v30, s[2:3], s2, v152
	s_nop 1
	v_addc_co_u32_e64 v31, s[2:3], 0, v153, s[2:3]
	global_load_dwordx4 v[14:17], v[30:31], off offset:736
	s_nop 0
	global_load_dwordx4 v[18:21], v[18:19], off offset:3744
	s_nop 0
	;; [unrolled: 2-line block ×4, first 2 shown]
	global_load_dwordx4 v[30:33], v[30:31], off offset:3232
	ds_read_b128 v[34:37], v187
	ds_read_b128 v[152:155], v187 offset:1248
	ds_read_b128 v[160:163], v187 offset:6240
	s_waitcnt vmcnt(9) lgkmcnt(2)
	v_mul_f64 v[38:39], v[36:37], v[146:147]
	v_mul_f64 v[158:159], v[34:35], v[146:147]
	v_fma_f64 v[156:157], v[34:35], v[144:145], -v[38:39]
	v_fmac_f64_e32 v[158:159], v[36:37], v[144:145]
	ds_read_b128 v[34:37], v187 offset:4992
	s_waitcnt vmcnt(8) lgkmcnt(1)
	v_mul_f64 v[38:39], v[162:163], v[150:151]
	v_mul_f64 v[146:147], v[160:161], v[150:151]
	v_fma_f64 v[144:145], v[160:161], v[148:149], -v[38:39]
	v_fmac_f64_e32 v[146:147], v[162:163], v[148:149]
	ds_read_b128 v[148:151], v187 offset:7488
	ds_write_b128 v187, v[144:147] offset:6240
	s_waitcnt vmcnt(7)
	v_mul_f64 v[38:39], v[154:155], v[4:5]
	v_mul_f64 v[146:147], v[152:153], v[4:5]
	v_fma_f64 v[144:145], v[152:153], v[2:3], -v[38:39]
	v_fmac_f64_e32 v[146:147], v[154:155], v[2:3]
	ds_read_b128 v[2:5], v187 offset:8736
	ds_read_b128 v[152:155], v187 offset:2496
	ds_write_b128 v187, v[144:147] offset:1248
	s_waitcnt vmcnt(6) lgkmcnt(4)
	v_mul_f64 v[38:39], v[150:151], v[8:9]
	v_mul_f64 v[146:147], v[148:149], v[8:9]
	v_fma_f64 v[144:145], v[148:149], v[6:7], -v[38:39]
	v_fmac_f64_e32 v[146:147], v[150:151], v[6:7]
	ds_read_b128 v[6:9], v187 offset:3744
	ds_write_b128 v187, v[144:147] offset:7488
	s_waitcnt vmcnt(5) lgkmcnt(3)
	v_mul_f64 v[38:39], v[154:155], v[12:13]
	v_mul_f64 v[146:147], v[152:153], v[12:13]
	v_fma_f64 v[144:145], v[152:153], v[10:11], -v[38:39]
	v_fmac_f64_e32 v[146:147], v[154:155], v[10:11]
	s_waitcnt vmcnt(4)
	v_mul_f64 v[10:11], v[4:5], v[16:17]
	v_mul_f64 v[12:13], v[2:3], v[16:17]
	v_fma_f64 v[10:11], v[2:3], v[14:15], -v[10:11]
	v_fmac_f64_e32 v[12:13], v[4:5], v[14:15]
	ds_write_b128 v187, v[10:13] offset:8736
	ds_read_b128 v[10:13], v187 offset:9984
	s_waitcnt vmcnt(3) lgkmcnt(3)
	v_mul_f64 v[2:3], v[8:9], v[20:21]
	v_mul_f64 v[4:5], v[6:7], v[20:21]
	v_fma_f64 v[2:3], v[6:7], v[18:19], -v[2:3]
	v_fmac_f64_e32 v[4:5], v[8:9], v[18:19]
	ds_write_b128 v187, v[2:5] offset:3744
	ds_read_b128 v[2:5], v187 offset:11232
	s_waitcnt vmcnt(2) lgkmcnt(2)
	v_mul_f64 v[6:7], v[12:13], v[24:25]
	v_mul_f64 v[8:9], v[10:11], v[24:25]
	v_fma_f64 v[6:7], v[10:11], v[22:23], -v[6:7]
	v_fmac_f64_e32 v[8:9], v[12:13], v[22:23]
	ds_write_b128 v187, v[6:9] offset:9984
	s_waitcnt vmcnt(1)
	v_mul_f64 v[6:7], v[36:37], v[28:29]
	v_mul_f64 v[8:9], v[34:35], v[28:29]
	v_fma_f64 v[6:7], v[34:35], v[26:27], -v[6:7]
	v_fmac_f64_e32 v[8:9], v[36:37], v[26:27]
	ds_write_b128 v187, v[6:9] offset:4992
	s_waitcnt vmcnt(0) lgkmcnt(2)
	v_mul_f64 v[6:7], v[4:5], v[32:33]
	v_mul_f64 v[8:9], v[2:3], v[32:33]
	v_fma_f64 v[6:7], v[2:3], v[30:31], -v[6:7]
	v_fmac_f64_e32 v[8:9], v[4:5], v[30:31]
	ds_write_b128 v187, v[156:159]
	ds_write_b128 v187, v[144:147] offset:2496
	ds_write_b128 v187, v[6:9] offset:11232
	s_waitcnt lgkmcnt(0)
	s_barrier
	ds_read_b128 v[2:5], v187 offset:6240
	ds_read_b128 v[6:9], v187
	ds_read_b128 v[10:13], v187 offset:1248
	ds_read_b128 v[14:17], v187 offset:7488
	;; [unrolled: 1-line block ×8, first 2 shown]
	s_waitcnt lgkmcnt(8)
	v_add_f64 v[2:3], v[6:7], -v[2:3]
	v_add_f64 v[4:5], v[8:9], -v[4:5]
	v_fma_f64 v[6:7], v[6:7], 2.0, -v[2:3]
	v_fma_f64 v[8:9], v[8:9], 2.0, -v[4:5]
	s_waitcnt lgkmcnt(0)
	v_add_f64 v[148:149], v[30:31], -v[144:145]
	v_add_f64 v[150:151], v[32:33], -v[146:147]
	;; [unrolled: 1-line block ×8, first 2 shown]
	v_fma_f64 v[30:31], v[30:31], 2.0, -v[148:149]
	v_fma_f64 v[32:33], v[32:33], 2.0, -v[150:151]
	v_fma_f64 v[10:11], v[10:11], 2.0, -v[14:15]
	v_fma_f64 v[12:13], v[12:13], 2.0, -v[16:17]
	v_fma_f64 v[22:23], v[22:23], 2.0, -v[18:19]
	v_fma_f64 v[24:25], v[24:25], 2.0, -v[20:21]
	v_fma_f64 v[26:27], v[26:27], 2.0, -v[34:35]
	v_fma_f64 v[28:29], v[28:29], 2.0, -v[36:37]
	s_barrier
	ds_write_b128 v172, v[6:9]
	ds_write_b128 v172, v[2:5] offset:16
	ds_write_b128 v173, v[10:13]
	ds_write_b128 v173, v[14:17] offset:16
	;; [unrolled: 2-line block ×5, first 2 shown]
	s_waitcnt lgkmcnt(0)
	s_barrier
	ds_read_b128 v[144:147], v187
	ds_read_b128 v[152:155], v187 offset:1248
	ds_read_b128 v[172:175], v187 offset:8320
	;; [unrolled: 1-line block ×8, first 2 shown]
	s_and_saveexec_b64 s[2:3], vcc
	s_cbranch_execz .LBB0_11
; %bb.10:
	ds_read_b128 v[148:151], v187 offset:3744
	ds_read_b128 v[140:143], v187 offset:7904
	;; [unrolled: 1-line block ×3, first 2 shown]
.LBB0_11:
	s_or_b64 exec, exec, s[2:3]
	s_waitcnt lgkmcnt(4)
	v_mul_f64 v[2:3], v[46:47], v[182:183]
	v_fmac_f64_e32 v[2:3], v[44:45], v[180:181]
	v_mul_f64 v[6:7], v[42:43], v[174:175]
	v_mul_f64 v[4:5], v[46:47], v[180:181]
	v_fmac_f64_e32 v[6:7], v[40:41], v[172:173]
	v_mul_f64 v[8:9], v[42:43], v[172:173]
	v_mul_f64 v[14:15], v[42:43], v[170:171]
	v_mul_f64 v[16:17], v[42:43], v[168:169]
	s_waitcnt lgkmcnt(0)
	v_mul_f64 v[22:23], v[42:43], v[162:163]
	v_mul_f64 v[24:25], v[42:43], v[160:161]
	;; [unrolled: 1-line block ×4, first 2 shown]
	v_add_f64 v[34:35], v[144:145], v[2:3]
	v_fma_f64 v[4:5], v[44:45], v[182:183], -v[4:5]
	v_fma_f64 v[8:9], v[40:41], v[174:175], -v[8:9]
	v_fmac_f64_e32 v[14:15], v[40:41], v[168:169]
	v_fma_f64 v[16:17], v[40:41], v[170:171], -v[16:17]
	v_fmac_f64_e32 v[22:23], v[40:41], v[160:161]
	;; [unrolled: 2-line block ×3, first 2 shown]
	v_fma_f64 v[32:33], v[40:41], v[138:139], -v[32:33]
	v_add_f64 v[40:41], v[34:35], v[6:7]
	v_add_f64 v[34:35], v[2:3], v[6:7]
	s_mov_b32 s2, 0xe8584caa
	v_mul_f64 v[10:11], v[46:47], v[178:179]
	v_mul_f64 v[12:13], v[46:47], v[176:177]
	;; [unrolled: 1-line block ×6, first 2 shown]
	v_fmac_f64_e32 v[144:145], -0.5, v[34:35]
	v_add_f64 v[34:35], v[4:5], -v[8:9]
	s_mov_b32 s3, 0xbfebb67a
	s_mov_b32 s9, 0x3febb67a
	;; [unrolled: 1-line block ×3, first 2 shown]
	v_fmac_f64_e32 v[10:11], v[44:45], v[176:177]
	v_fma_f64 v[12:13], v[44:45], v[178:179], -v[12:13]
	v_fmac_f64_e32 v[18:19], v[44:45], v[164:165]
	v_fma_f64 v[20:21], v[44:45], v[166:167], -v[20:21]
	;; [unrolled: 2-line block ×3, first 2 shown]
	v_fma_f64 v[44:45], s[2:3], v[34:35], v[144:145]
	v_fmac_f64_e32 v[144:145], s[8:9], v[34:35]
	v_add_f64 v[34:35], v[146:147], v[4:5]
	v_add_f64 v[4:5], v[4:5], v[8:9]
	v_fmac_f64_e32 v[146:147], -0.5, v[4:5]
	v_add_f64 v[2:3], v[2:3], -v[6:7]
	v_fma_f64 v[46:47], s[8:9], v[2:3], v[146:147]
	v_fmac_f64_e32 v[146:147], s[2:3], v[2:3]
	v_add_f64 v[2:3], v[152:153], v[10:11]
	v_add_f64 v[136:137], v[2:3], v[14:15]
	v_add_f64 v[2:3], v[10:11], v[14:15]
	v_fmac_f64_e32 v[152:153], -0.5, v[2:3]
	v_add_f64 v[2:3], v[12:13], -v[16:17]
	v_fma_f64 v[140:141], s[2:3], v[2:3], v[152:153]
	v_fmac_f64_e32 v[152:153], s[8:9], v[2:3]
	v_add_f64 v[2:3], v[154:155], v[12:13]
	;; [unrolled: 7-line block ×6, first 2 shown]
	v_add_f64 v[170:171], v[2:3], v[32:33]
	v_add_f64 v[2:3], v[28:29], v[32:33]
	v_add_f64 v[42:43], v[34:35], v[8:9]
	v_fmac_f64_e32 v[150:151], -0.5, v[2:3]
	v_add_f64 v[2:3], v[26:27], -v[30:31]
	v_accvgpr_read_b32 v1, a47
	v_fma_f64 v[166:167], s[8:9], v[2:3], v[150:151]
	v_fmac_f64_e32 v[150:151], s[2:3], v[2:3]
	s_barrier
	ds_write_b128 v1, v[40:43]
	ds_write_b128 v1, v[44:47] offset:32
	ds_write_b128 v1, v[144:147] offset:64
	v_accvgpr_read_b32 v1, a64
	ds_write_b128 v1, v[136:139]
	ds_write_b128 v1, v[140:143] offset:32
	ds_write_b128 v1, v[152:155] offset:64
	ds_write_b128 v185, v[160:163]
	ds_write_b128 v185, v[172:175] offset:32
	ds_write_b128 v185, v[156:159] offset:64
	s_and_saveexec_b64 s[2:3], vcc
	s_cbranch_execz .LBB0_13
; %bb.12:
	v_accvgpr_read_b32 v1, a65
	v_mul_u32_u24_e32 v1, 6, v1
	v_or_b32_e32 v1, v1, v195
	v_lshl_add_u32 v1, v1, 4, v194
	ds_write_b128 v1, v[168:171]
	ds_write_b128 v1, v[164:167] offset:32
	ds_write_b128 v1, v[148:151] offset:64
.LBB0_13:
	s_or_b64 exec, exec, s[2:3]
	s_waitcnt lgkmcnt(0)
	s_barrier
	s_and_saveexec_b64 s[2:3], s[0:1]
	s_cbranch_execz .LBB0_15
; %bb.14:
	ds_read_b128 v[40:43], v187
	ds_read_b128 v[44:47], v187 offset:960
	ds_read_b128 v[144:147], v187 offset:1920
	;; [unrolled: 1-line block ×12, first 2 shown]
.LBB0_15:
	s_or_b64 exec, exec, s[2:3]
	v_add_u32_e32 v22, 0x9c0, v0
	v_add_u32_e32 v21, 0xea0, v0
	;; [unrolled: 1-line block ×3, first 2 shown]
	s_waitcnt lgkmcnt(0)
	s_barrier
	s_and_saveexec_b64 s[2:3], s[0:1]
	s_cbranch_execz .LBB0_17
; %bb.16:
	v_mul_f64 v[176:177], v[90:91], v[162:163]
	v_mul_f64 v[0:1], v[90:91], v[160:161]
	v_accvgpr_read_b32 v6, a60
	v_fmac_f64_e32 v[176:177], v[88:89], v[160:161]
	v_mul_f64 v[178:179], v[86:87], v[174:175]
	v_fma_f64 v[88:89], v[88:89], v[162:163], -v[0:1]
	v_mul_f64 v[0:1], v[86:87], v[172:173]
	v_accvgpr_read_b32 v8, a62
	v_accvgpr_read_b32 v9, a63
	v_fmac_f64_e32 v[178:179], v[84:85], v[172:173]
	v_fma_f64 v[90:91], v[84:85], v[174:175], -v[0:1]
	v_mul_f64 v[84:85], v[74:75], v[154:155]
	v_mul_f64 v[2:3], v[74:75], v[152:153]
	;; [unrolled: 1-line block ×4, first 2 shown]
	v_accvgpr_read_b32 v8, a56
	v_accvgpr_read_b32 v7, a61
	;; [unrolled: 1-line block ×4, first 2 shown]
	v_fmac_f64_e32 v[84:85], v[72:73], v[152:153]
	v_fma_f64 v[152:153], v[72:73], v[154:155], -v[2:3]
	v_fmac_f64_e32 v[74:75], v[6:7], v[140:141]
	v_mul_f64 v[72:73], v[94:95], v[170:171]
	v_fma_f64 v[140:141], v[6:7], v[142:143], -v[4:5]
	v_mul_f64 v[4:5], v[94:95], v[168:169]
	v_accvgpr_read_b32 v9, a57
	v_mul_f64 v[94:95], v[10:11], v[138:139]
	v_mul_f64 v[6:7], v[10:11], v[136:137]
	v_accvgpr_read_b32 v10, a52
	v_mul_f64 v[86:87], v[78:79], v[158:159]
	v_mul_f64 v[2:3], v[78:79], v[156:157]
	;; [unrolled: 1-line block ×3, first 2 shown]
	v_fma_f64 v[138:139], v[8:9], v[138:139], -v[6:7]
	v_mul_f64 v[6:7], v[82:83], v[164:165]
	v_accvgpr_read_b32 v12, a54
	v_accvgpr_read_b32 v13, a55
	v_fmac_f64_e32 v[94:95], v[8:9], v[136:137]
	v_fmac_f64_e32 v[78:79], v[80:81], v[164:165]
	v_fma_f64 v[82:83], v[80:81], v[166:167], -v[6:7]
	v_accvgpr_read_b32 v11, a53
	v_mul_f64 v[136:137], v[12:13], v[146:147]
	v_mul_f64 v[80:81], v[70:71], v[150:151]
	;; [unrolled: 1-line block ×3, first 2 shown]
	v_fmac_f64_e32 v[86:87], v[76:77], v[156:157]
	v_fmac_f64_e32 v[136:137], v[10:11], v[144:145]
	;; [unrolled: 1-line block ×3, first 2 shown]
	v_fma_f64 v[156:157], v[10:11], v[146:147], -v[8:9]
	v_mul_f64 v[8:9], v[70:71], v[148:149]
	v_mul_f64 v[148:149], v[202:203], v[46:47]
	;; [unrolled: 1-line block ×4, first 2 shown]
	v_fma_f64 v[146:147], v[68:69], v[150:151], -v[8:9]
	v_fmac_f64_e32 v[148:149], v[200:201], v[44:45]
	v_fmac_f64_e32 v[144:145], v[64:65], v[112:113]
	s_mov_b32 s28, 0x4bc48dbf
	v_fma_f64 v[150:151], v[200:201], v[46:47], -v[12:13]
	v_mul_f64 v[12:13], v[66:67], v[112:113]
	v_add_f64 v[8:9], v[148:149], -v[144:145]
	s_mov_b32 s29, 0xbfcea1e5
	v_fma_f64 v[112:113], v[64:65], v[114:115], -v[12:13]
	s_mov_b32 s26, 0x93053d00
	v_fmac_f64_e32 v[72:73], v[92:93], v[168:169]
	v_fma_f64 v[92:93], v[92:93], v[170:171], -v[4:5]
	s_mov_b32 s20, 0x24c2f84
	v_add_f64 v[170:171], v[136:137], -v[80:81]
	s_mov_b32 s25, 0x3fddbe06
	s_mov_b32 s24, 0x4267c47c
	;; [unrolled: 1-line block ×3, first 2 shown]
	v_mul_f64 v[34:35], v[8:9], s[28:29]
	v_add_f64 v[114:115], v[150:151], v[112:113]
	s_mov_b32 s27, 0xbfef11f4
	s_mov_b32 s34, 0x42a4c3d2
	v_add_f64 v[168:169], v[94:95], -v[78:79]
	s_mov_b32 s21, 0xbfe5384d
	s_mov_b32 s16, 0xd0032e0c
	v_mul_f64 v[32:33], v[170:171], s[24:25]
	v_add_f64 v[164:165], v[156:157], v[146:147]
	s_mov_b32 s19, 0x3fec55a7
	v_fma_f64 v[12:13], s[26:27], v[114:115], v[34:35]
	s_mov_b32 s14, 0x2ef20147
	v_fma_f64 v[76:77], v[76:77], v[158:159], -v[2:3]
	v_add_f64 v[172:173], v[74:75], -v[72:73]
	s_mov_b32 s35, 0x3fea55e2
	s_mov_b32 s10, 0x1ea71119
	v_mul_f64 v[30:31], v[168:169], s[20:21]
	v_add_f64 v[158:159], v[138:139], v[82:83]
	s_mov_b32 s17, 0xbfe7f3cc
	v_fma_f64 v[10:11], s[18:19], v[164:165], v[32:33]
	v_add_f64 v[12:13], v[42:43], v[12:13]
	v_add_f64 v[162:163], v[84:85], -v[86:87]
	s_mov_b32 s15, 0xbfedeba7
	s_mov_b32 s8, 0xb2365da1
	v_mul_f64 v[28:29], v[172:173], s[34:35]
	v_add_f64 v[142:143], v[140:141], v[92:93]
	s_mov_b32 s11, 0x3fe22d96
	v_fma_f64 v[6:7], s[16:17], v[158:159], v[30:31]
	v_add_f64 v[10:11], v[10:11], v[12:13]
	s_mov_b32 s22, 0x66966769
	v_mul_f64 v[26:27], v[162:163], s[14:15]
	v_add_f64 v[154:155], v[152:153], v[76:77]
	s_mov_b32 s9, 0xbfd6b1d8
	v_fma_f64 v[4:5], s[10:11], v[142:143], v[28:29]
	v_add_f64 v[6:7], v[6:7], v[10:11]
	v_add_f64 v[182:183], v[150:151], -v[112:113]
	v_add_f64 v[180:181], v[176:177], -v[178:179]
	s_mov_b32 s23, 0x3fefc445
	s_mov_b32 s0, 0xebaa3ed8
	v_fma_f64 v[2:3], s[8:9], v[154:155], v[26:27]
	v_add_f64 v[4:5], v[4:5], v[6:7]
	v_add_f64 v[18:19], v[156:157], -v[146:147]
	v_add_f64 v[6:7], v[148:149], v[144:145]
	v_mul_f64 v[62:63], v[182:183], s[28:29]
	v_fma_f64 v[34:35], v[114:115], s[26:27], -v[34:35]
	v_mul_f64 v[24:25], v[180:181], s[22:23]
	v_add_f64 v[160:161], v[88:89], v[90:91]
	s_mov_b32 s1, 0x3fbedb7d
	v_add_f64 v[2:3], v[2:3], v[4:5]
	v_add_f64 v[16:17], v[138:139], -v[82:83]
	v_add_f64 v[4:5], v[136:137], v[80:81]
	v_mul_f64 v[58:59], v[18:19], s[24:25]
	v_fma_f64 v[64:65], v[6:7], s[26:27], -v[62:63]
	v_fma_f64 v[32:33], v[164:165], s[18:19], -v[32:33]
	v_add_f64 v[34:35], v[42:43], v[34:35]
	v_fma_f64 v[0:1], s[0:1], v[160:161], v[24:25]
	v_add_f64 v[14:15], v[140:141], -v[92:93]
	v_add_f64 v[174:175], v[94:95], v[78:79]
	v_mul_f64 v[54:55], v[16:17], s[20:21]
	v_fma_f64 v[60:61], v[4:5], s[18:19], -v[58:59]
	v_add_f64 v[64:65], v[40:41], v[64:65]
	v_fma_f64 v[30:31], v[158:159], s[16:17], -v[30:31]
	v_add_f64 v[32:33], v[32:33], v[34:35]
	v_add_f64 v[46:47], v[0:1], v[2:3]
	v_add_f64 v[12:13], v[152:153], -v[76:77]
	v_add_f64 v[2:3], v[74:75], v[72:73]
	v_mul_f64 v[52:53], v[14:15], s[34:35]
	v_fma_f64 v[56:57], v[174:175], s[16:17], -v[54:55]
	v_add_f64 v[60:61], v[60:61], v[64:65]
	v_fma_f64 v[28:29], v[142:143], s[10:11], -v[28:29]
	v_add_f64 v[30:31], v[30:31], v[32:33]
	v_add_f64 v[0:1], v[84:85], v[86:87]
	v_mul_f64 v[48:49], v[12:13], s[14:15]
	v_fma_f64 v[50:51], v[2:3], s[10:11], -v[52:53]
	v_add_f64 v[56:57], v[56:57], v[60:61]
	v_fma_f64 v[26:27], v[154:155], s[8:9], -v[26:27]
	v_add_f64 v[28:29], v[28:29], v[30:31]
	;; [unrolled: 2-line block ×4, first 2 shown]
	v_fmac_f64_e32 v[62:63], s[26:27], v[6:7]
	v_add_f64 v[44:45], v[44:45], v[50:51]
	v_add_f64 v[50:51], v[24:25], v[26:27]
	v_fmac_f64_e32 v[58:59], s[18:19], v[4:5]
	v_add_f64 v[24:25], v[40:41], v[62:63]
	v_fmac_f64_e32 v[54:55], s[16:17], v[174:175]
	v_add_f64 v[24:25], v[58:59], v[24:25]
	v_add_f64 v[10:11], v[88:89], -v[90:91]
	v_fmac_f64_e32 v[52:53], s[10:11], v[2:3]
	v_add_f64 v[24:25], v[54:55], v[24:25]
	v_add_f64 v[166:167], v[176:177], v[178:179]
	v_mul_f64 v[36:37], v[10:11], s[22:23]
	v_fmac_f64_e32 v[48:49], s[8:9], v[0:1]
	v_add_f64 v[24:25], v[52:53], v[24:25]
	v_mul_f64 v[58:59], v[8:9], s[20:21]
	v_fma_f64 v[38:39], v[166:167], s[0:1], -v[36:37]
	v_fmac_f64_e32 v[36:37], s[0:1], v[166:167]
	v_add_f64 v[24:25], v[48:49], v[24:25]
	s_mov_b32 s31, 0xbfea55e2
	s_mov_b32 s30, s34
	v_mul_f64 v[56:57], v[170:171], s[22:23]
	v_fma_f64 v[54:55], s[16:17], v[114:115], v[58:59]
	v_add_f64 v[48:49], v[36:37], v[24:25]
	s_mov_b32 s41, 0x3fcea1e5
	s_mov_b32 s40, s28
	v_mul_f64 v[36:37], v[168:169], s[30:31]
	v_fma_f64 v[52:53], s[0:1], v[164:165], v[56:57]
	v_add_f64 v[54:55], v[42:43], v[54:55]
	v_mul_f64 v[70:71], v[182:183], s[20:21]
	v_add_f64 v[44:45], v[38:39], v[44:45]
	v_mul_f64 v[32:33], v[172:173], s[40:41]
	v_fma_f64 v[38:39], s[10:11], v[158:159], v[36:37]
	v_add_f64 v[52:53], v[52:53], v[54:55]
	v_mul_f64 v[66:67], v[18:19], s[22:23]
	v_fma_f64 v[188:189], v[6:7], s[16:17], -v[70:71]
	v_mul_f64 v[28:29], v[162:163], s[24:25]
	v_fma_f64 v[34:35], s[26:27], v[142:143], v[32:33]
	v_add_f64 v[38:39], v[38:39], v[52:53]
	v_mul_f64 v[62:63], v[16:17], s[30:31]
	v_fma_f64 v[68:69], v[4:5], s[0:1], -v[66:67]
	v_add_f64 v[188:189], v[40:41], v[188:189]
	v_mul_f64 v[24:25], v[180:181], s[14:15]
	v_fma_f64 v[30:31], s[18:19], v[154:155], v[28:29]
	v_add_f64 v[34:35], v[34:35], v[38:39]
	v_mul_f64 v[60:61], v[14:15], s[40:41]
	v_fma_f64 v[64:65], v[174:175], s[10:11], -v[62:63]
	v_add_f64 v[68:69], v[68:69], v[188:189]
	v_fma_f64 v[26:27], s[8:9], v[160:161], v[24:25]
	v_add_f64 v[30:31], v[30:31], v[34:35]
	v_mul_f64 v[34:35], v[12:13], s[24:25]
	v_fma_f64 v[52:53], v[2:3], s[26:27], -v[60:61]
	v_add_f64 v[64:65], v[64:65], v[68:69]
	v_add_f64 v[54:55], v[26:27], v[30:31]
	v_mul_f64 v[26:27], v[10:11], s[14:15]
	v_fma_f64 v[38:39], v[0:1], s[18:19], -v[34:35]
	v_add_f64 v[52:53], v[52:53], v[64:65]
	v_fma_f64 v[30:31], v[166:167], s[8:9], -v[26:27]
	v_add_f64 v[38:39], v[38:39], v[52:53]
	v_add_f64 v[52:53], v[30:31], v[38:39]
	v_fma_f64 v[38:39], v[114:115], s[16:17], -v[58:59]
	v_fma_f64 v[30:31], v[142:143], s[26:27], -v[32:33]
	;; [unrolled: 1-line block ×4, first 2 shown]
	v_add_f64 v[38:39], v[42:43], v[38:39]
	v_add_f64 v[36:37], v[36:37], v[38:39]
	;; [unrolled: 1-line block ×3, first 2 shown]
	v_fma_f64 v[28:29], v[154:155], s[18:19], -v[28:29]
	v_add_f64 v[30:31], v[30:31], v[32:33]
	v_fma_f64 v[24:25], v[160:161], s[8:9], -v[24:25]
	v_add_f64 v[28:29], v[28:29], v[30:31]
	v_fmac_f64_e32 v[70:71], s[16:17], v[6:7]
	v_add_f64 v[58:59], v[24:25], v[28:29]
	v_fmac_f64_e32 v[66:67], s[0:1], v[4:5]
	;; [unrolled: 2-line block ×3, first 2 shown]
	v_add_f64 v[24:25], v[66:67], v[24:25]
	s_mov_b32 s39, 0x3fe5384d
	s_mov_b32 s38, s20
	v_mul_f64 v[66:67], v[8:9], s[14:15]
	v_fmac_f64_e32 v[60:61], s[26:27], v[2:3]
	v_add_f64 v[24:25], v[62:63], v[24:25]
	v_mul_f64 v[64:65], v[170:171], s[38:39]
	v_fma_f64 v[62:63], s[8:9], v[114:115], v[66:67]
	v_add_f64 v[24:25], v[60:61], v[24:25]
	s_mov_b32 s37, 0xbfefc445
	s_mov_b32 s36, s22
	v_mul_f64 v[36:37], v[168:169], s[24:25]
	v_fma_f64 v[60:61], s[16:17], v[164:165], v[64:65]
	v_add_f64 v[62:63], v[42:43], v[62:63]
	v_mov_b32_e32 v23, v194
	v_mul_f64 v[194:195], v[182:183], s[14:15]
	v_fmac_f64_e32 v[34:35], s[18:19], v[0:1]
	v_mul_f64 v[32:33], v[172:173], s[36:37]
	v_fma_f64 v[38:39], s[18:19], v[158:159], v[36:37]
	v_add_f64 v[60:61], v[60:61], v[62:63]
	v_mul_f64 v[190:191], v[18:19], s[38:39]
	v_fma_f64 v[196:197], v[6:7], s[8:9], -v[194:195]
	v_fmac_f64_e32 v[26:27], s[8:9], v[166:167]
	v_add_f64 v[24:25], v[34:35], v[24:25]
	v_mul_f64 v[28:29], v[162:163], s[40:41]
	v_fma_f64 v[34:35], s[0:1], v[142:143], v[32:33]
	v_add_f64 v[38:39], v[38:39], v[60:61]
	v_mul_f64 v[70:71], v[16:17], s[24:25]
	v_fma_f64 v[192:193], v[4:5], s[16:17], -v[190:191]
	v_add_f64 v[196:197], v[40:41], v[196:197]
	v_add_f64 v[56:57], v[26:27], v[24:25]
	v_mul_f64 v[24:25], v[180:181], s[34:35]
	v_fma_f64 v[30:31], s[26:27], v[154:155], v[28:29]
	v_add_f64 v[34:35], v[34:35], v[38:39]
	v_mul_f64 v[68:69], v[14:15], s[36:37]
	v_fma_f64 v[188:189], v[174:175], s[18:19], -v[70:71]
	v_add_f64 v[192:193], v[192:193], v[196:197]
	v_fma_f64 v[26:27], s[10:11], v[160:161], v[24:25]
	v_add_f64 v[30:31], v[30:31], v[34:35]
	v_mul_f64 v[34:35], v[12:13], s[40:41]
	v_fma_f64 v[60:61], v[2:3], s[0:1], -v[68:69]
	v_add_f64 v[188:189], v[188:189], v[192:193]
	v_add_f64 v[62:63], v[26:27], v[30:31]
	v_mul_f64 v[26:27], v[10:11], s[34:35]
	v_fma_f64 v[38:39], v[0:1], s[26:27], -v[34:35]
	v_add_f64 v[60:61], v[60:61], v[188:189]
	v_fma_f64 v[30:31], v[166:167], s[10:11], -v[26:27]
	v_add_f64 v[38:39], v[38:39], v[60:61]
	v_add_f64 v[60:61], v[30:31], v[38:39]
	v_fma_f64 v[38:39], v[114:115], s[8:9], -v[66:67]
	v_fma_f64 v[30:31], v[142:143], s[0:1], -v[32:33]
	v_fma_f64 v[32:33], v[158:159], s[18:19], -v[36:37]
	v_fma_f64 v[36:37], v[164:165], s[16:17], -v[64:65]
	v_add_f64 v[38:39], v[42:43], v[38:39]
	v_add_f64 v[36:37], v[36:37], v[38:39]
	v_add_f64 v[32:33], v[32:33], v[36:37]
	v_fma_f64 v[28:29], v[154:155], s[26:27], -v[28:29]
	v_add_f64 v[30:31], v[30:31], v[32:33]
	v_fma_f64 v[24:25], v[160:161], s[10:11], -v[24:25]
	v_add_f64 v[28:29], v[28:29], v[30:31]
	v_fmac_f64_e32 v[194:195], s[8:9], v[6:7]
	v_add_f64 v[66:67], v[24:25], v[28:29]
	v_fmac_f64_e32 v[190:191], s[16:17], v[4:5]
	;; [unrolled: 2-line block ×3, first 2 shown]
	v_add_f64 v[24:25], v[190:191], v[24:25]
	v_mul_f64 v[190:191], v[8:9], s[36:37]
	v_fmac_f64_e32 v[68:69], s[0:1], v[2:3]
	v_add_f64 v[24:25], v[70:71], v[24:25]
	s_mov_b32 s35, 0x3fedeba7
	s_mov_b32 s34, s14
	v_mul_f64 v[188:189], v[170:171], s[28:29]
	v_fma_f64 v[70:71], s[0:1], v[114:115], v[190:191]
	v_add_f64 v[24:25], v[68:69], v[24:25]
	v_mul_f64 v[36:37], v[168:169], s[34:35]
	v_fma_f64 v[68:69], s[26:27], v[164:165], v[188:189]
	v_add_f64 v[70:71], v[42:43], v[70:71]
	v_mul_f64 v[202:203], v[182:183], s[36:37]
	v_fmac_f64_e32 v[34:35], s[26:27], v[0:1]
	v_mul_f64 v[32:33], v[172:173], s[24:25]
	v_fma_f64 v[38:39], s[8:9], v[158:159], v[36:37]
	v_add_f64 v[68:69], v[68:69], v[70:71]
	v_mul_f64 v[198:199], v[18:19], s[28:29]
	v_fma_f64 v[204:205], v[6:7], s[0:1], -v[202:203]
	v_fmac_f64_e32 v[26:27], s[10:11], v[166:167]
	v_add_f64 v[24:25], v[34:35], v[24:25]
	v_mul_f64 v[28:29], v[162:163], s[30:31]
	v_fma_f64 v[34:35], s[18:19], v[142:143], v[32:33]
	v_add_f64 v[38:39], v[38:39], v[68:69]
	v_mul_f64 v[194:195], v[16:17], s[34:35]
	v_fma_f64 v[200:201], v[4:5], s[26:27], -v[198:199]
	v_add_f64 v[204:205], v[40:41], v[204:205]
	v_add_f64 v[64:65], v[26:27], v[24:25]
	v_mul_f64 v[24:25], v[180:181], s[20:21]
	v_fma_f64 v[30:31], s[10:11], v[154:155], v[28:29]
	v_add_f64 v[34:35], v[34:35], v[38:39]
	v_mul_f64 v[192:193], v[14:15], s[24:25]
	v_fma_f64 v[196:197], v[174:175], s[8:9], -v[194:195]
	v_add_f64 v[200:201], v[200:201], v[204:205]
	v_fma_f64 v[26:27], s[16:17], v[160:161], v[24:25]
	v_add_f64 v[30:31], v[30:31], v[34:35]
	v_mul_f64 v[34:35], v[12:13], s[30:31]
	v_fma_f64 v[68:69], v[2:3], s[18:19], -v[192:193]
	v_add_f64 v[196:197], v[196:197], v[200:201]
	v_add_f64 v[70:71], v[26:27], v[30:31]
	v_mul_f64 v[30:31], v[10:11], s[20:21]
	v_fma_f64 v[38:39], v[0:1], s[10:11], -v[34:35]
	v_add_f64 v[68:69], v[68:69], v[196:197]
	v_fma_f64 v[26:27], v[166:167], s[16:17], -v[30:31]
	v_add_f64 v[38:39], v[38:39], v[68:69]
	v_add_f64 v[68:69], v[26:27], v[38:39]
	v_fma_f64 v[38:39], v[114:115], s[0:1], -v[190:191]
	v_fma_f64 v[26:27], v[154:155], s[10:11], -v[28:29]
	;; [unrolled: 1-line block ×5, first 2 shown]
	v_add_f64 v[38:39], v[42:43], v[38:39]
	v_add_f64 v[36:37], v[36:37], v[38:39]
	;; [unrolled: 1-line block ×4, first 2 shown]
	v_fma_f64 v[24:25], v[160:161], s[16:17], -v[24:25]
	v_add_f64 v[26:27], v[26:27], v[28:29]
	v_fmac_f64_e32 v[202:203], s[0:1], v[6:7]
	v_add_f64 v[26:27], v[24:25], v[26:27]
	v_fmac_f64_e32 v[198:199], s[26:27], v[4:5]
	;; [unrolled: 2-line block ×4, first 2 shown]
	v_add_f64 v[24:25], v[194:195], v[24:25]
	v_mul_f64 v[196:197], v[8:9], s[30:31]
	v_add_f64 v[24:25], v[192:193], v[24:25]
	v_mul_f64 v[192:193], v[170:171], s[14:15]
	v_fma_f64 v[198:199], s[10:11], v[114:115], v[196:197]
	v_mul_f64 v[210:211], v[182:183], s[30:31]
	v_mul_f64 v[188:189], v[168:169], s[28:29]
	v_fma_f64 v[194:195], s[8:9], v[164:165], v[192:193]
	v_add_f64 v[198:199], v[42:43], v[198:199]
	v_mul_f64 v[206:207], v[18:19], s[14:15]
	v_fma_f64 v[212:213], v[6:7], s[10:11], -v[210:211]
	v_fmac_f64_e32 v[34:35], s[10:11], v[0:1]
	v_mul_f64 v[36:37], v[172:173], s[38:39]
	v_fma_f64 v[190:191], s[26:27], v[158:159], v[188:189]
	v_add_f64 v[194:195], v[194:195], v[198:199]
	v_mul_f64 v[202:203], v[16:17], s[28:29]
	v_fma_f64 v[208:209], v[4:5], s[8:9], -v[206:207]
	v_add_f64 v[212:213], v[40:41], v[212:213]
	v_fmac_f64_e32 v[30:31], s[16:17], v[166:167]
	v_add_f64 v[24:25], v[34:35], v[24:25]
	v_mul_f64 v[34:35], v[162:163], s[22:23]
	v_fma_f64 v[38:39], s[16:17], v[142:143], v[36:37]
	v_add_f64 v[190:191], v[190:191], v[194:195]
	v_mul_f64 v[198:199], v[14:15], s[38:39]
	v_fma_f64 v[204:205], v[174:175], s[26:27], -v[202:203]
	v_add_f64 v[208:209], v[208:209], v[212:213]
	v_add_f64 v[24:25], v[30:31], v[24:25]
	v_mul_f64 v[32:33], v[180:181], s[24:25]
	v_fma_f64 v[30:31], s[0:1], v[154:155], v[34:35]
	v_add_f64 v[38:39], v[38:39], v[190:191]
	v_mul_f64 v[190:191], v[12:13], s[22:23]
	v_fma_f64 v[200:201], v[2:3], s[16:17], -v[198:199]
	v_add_f64 v[204:205], v[204:205], v[208:209]
	v_fma_f64 v[28:29], s[18:19], v[160:161], v[32:33]
	v_add_f64 v[30:31], v[30:31], v[38:39]
	v_mul_f64 v[38:39], v[10:11], s[24:25]
	v_fma_f64 v[194:195], v[0:1], s[0:1], -v[190:191]
	v_add_f64 v[200:201], v[200:201], v[204:205]
	v_add_f64 v[30:31], v[28:29], v[30:31]
	v_fma_f64 v[28:29], v[166:167], s[18:19], -v[38:39]
	v_add_f64 v[194:195], v[194:195], v[200:201]
	v_add_f64 v[28:29], v[28:29], v[194:195]
	v_fma_f64 v[194:195], v[114:115], s[10:11], -v[196:197]
	v_fma_f64 v[192:193], v[164:165], s[8:9], -v[192:193]
	v_add_f64 v[194:195], v[42:43], v[194:195]
	v_fma_f64 v[188:189], v[158:159], s[26:27], -v[188:189]
	v_add_f64 v[192:193], v[192:193], v[194:195]
	;; [unrolled: 2-line block ×5, first 2 shown]
	v_fmac_f64_e32 v[210:211], s[10:11], v[6:7]
	v_add_f64 v[34:35], v[32:33], v[34:35]
	v_fmac_f64_e32 v[206:207], s[8:9], v[4:5]
	v_add_f64 v[32:33], v[40:41], v[210:211]
	s_mov_b32 s25, 0xbfddbe06
	v_fmac_f64_e32 v[202:203], s[26:27], v[174:175]
	v_add_f64 v[32:33], v[206:207], v[32:33]
	v_mul_f64 v[8:9], v[8:9], s[24:25]
	v_fmac_f64_e32 v[198:199], s[16:17], v[2:3]
	v_add_f64 v[32:33], v[202:203], v[32:33]
	v_mul_f64 v[170:171], v[170:171], s[30:31]
	v_fma_f64 v[194:195], s[18:19], v[114:115], v[8:9]
	v_fmac_f64_e32 v[190:191], s[0:1], v[0:1]
	v_add_f64 v[32:33], v[198:199], v[32:33]
	v_mul_f64 v[168:169], v[168:169], s[36:37]
	v_fma_f64 v[192:193], s[10:11], v[164:165], v[170:171]
	v_add_f64 v[194:195], v[42:43], v[194:195]
	v_add_f64 v[32:33], v[190:191], v[32:33]
	v_mul_f64 v[172:173], v[172:173], s[14:15]
	v_fma_f64 v[190:191], s[0:1], v[158:159], v[168:169]
	v_add_f64 v[192:193], v[192:193], v[194:195]
	v_fmac_f64_e32 v[38:39], s[18:19], v[166:167]
	v_mul_f64 v[162:163], v[162:163], s[20:21]
	v_fma_f64 v[188:189], s[8:9], v[142:143], v[172:173]
	v_add_f64 v[190:191], v[190:191], v[192:193]
	v_mul_f64 v[182:183], v[182:183], s[24:25]
	v_add_f64 v[32:33], v[38:39], v[32:33]
	v_fma_f64 v[38:39], s[16:17], v[154:155], v[162:163]
	v_add_f64 v[188:189], v[188:189], v[190:191]
	v_mul_f64 v[12:13], v[12:13], s[20:21]
	v_mul_f64 v[18:19], v[18:19], s[30:31]
	v_fma_f64 v[196:197], v[6:7], s[18:19], -v[182:183]
	v_fmac_f64_e32 v[182:183], s[18:19], v[6:7]
	v_add_f64 v[38:39], v[38:39], v[188:189]
	v_fma_f64 v[188:189], v[0:1], s[16:17], -v[12:13]
	v_mul_f64 v[16:17], v[16:17], s[36:37]
	v_fma_f64 v[194:195], v[4:5], s[10:11], -v[18:19]
	v_fmac_f64_e32 v[12:13], s[16:17], v[0:1]
	v_fmac_f64_e32 v[18:19], s[10:11], v[4:5]
	v_add_f64 v[0:1], v[40:41], v[182:183]
	v_mul_f64 v[14:15], v[14:15], s[14:15]
	v_fma_f64 v[192:193], v[174:175], s[0:1], -v[16:17]
	v_fmac_f64_e32 v[16:17], s[0:1], v[174:175]
	v_add_f64 v[0:1], v[18:19], v[0:1]
	v_mul_f64 v[180:181], v[180:181], s[28:29]
	v_fma_f64 v[190:191], v[2:3], s[8:9], -v[14:15]
	v_fmac_f64_e32 v[14:15], s[8:9], v[2:3]
	v_add_f64 v[0:1], v[16:17], v[0:1]
	v_fma_f64 v[36:37], s[26:27], v[160:161], v[180:181]
	v_mul_f64 v[10:11], v[10:11], s[28:29]
	v_add_f64 v[0:1], v[14:15], v[0:1]
	v_add_f64 v[38:39], v[36:37], v[38:39]
	v_fma_f64 v[36:37], v[166:167], s[26:27], -v[10:11]
	v_fmac_f64_e32 v[10:11], s[26:27], v[166:167]
	v_add_f64 v[0:1], v[12:13], v[0:1]
	v_add_f64 v[6:7], v[10:11], v[0:1]
	;; [unrolled: 1-line block ×20, first 2 shown]
	v_fma_f64 v[8:9], v[114:115], s[18:19], -v[8:9]
	v_add_f64 v[0:1], v[0:1], v[178:179]
	v_add_f64 v[196:197], v[40:41], v[196:197]
	v_fma_f64 v[154:155], v[154:155], s[16:17], -v[162:163]
	v_fma_f64 v[162:163], v[164:165], s[10:11], -v[170:171]
	v_add_f64 v[8:9], v[42:43], v[8:9]
	v_add_f64 v[0:1], v[0:1], v[86:87]
	;; [unrolled: 1-line block ×3, first 2 shown]
	v_fma_f64 v[158:159], v[158:159], s[0:1], -v[168:169]
	v_add_f64 v[8:9], v[162:163], v[8:9]
	v_add_f64 v[0:1], v[0:1], v[72:73]
	v_accvgpr_read_b32 v4, a40
	v_add_f64 v[192:193], v[192:193], v[194:195]
	v_fma_f64 v[142:143], v[142:143], s[8:9], -v[172:173]
	v_add_f64 v[8:9], v[158:159], v[8:9]
	v_add_f64 v[0:1], v[0:1], v[78:79]
	v_mul_u32_u24_e32 v4, 0x4e, v4
	v_accvgpr_read_b32 v5, a41
	v_add_f64 v[190:191], v[190:191], v[192:193]
	v_add_f64 v[8:9], v[142:143], v[8:9]
	;; [unrolled: 1-line block ×3, first 2 shown]
	v_add_u32_e32 v4, v4, v5
	v_add_f64 v[188:189], v[188:189], v[190:191]
	v_fma_f64 v[160:161], v[160:161], s[26:27], -v[180:181]
	v_add_f64 v[8:9], v[154:155], v[8:9]
	v_add_f64 v[0:1], v[0:1], v[144:145]
	v_lshl_add_u32 v4, v4, 4, v23
	v_add_f64 v[36:37], v[36:37], v[188:189]
	v_add_f64 v[8:9], v[160:161], v[8:9]
	ds_write_b128 v4, v[0:3]
	ds_write_b128 v4, v[6:9] offset:96
	ds_write_b128 v4, v[32:35] offset:192
	;; [unrolled: 1-line block ×12, first 2 shown]
.LBB0_17:
	s_or_b64 exec, exec, s[2:3]
	s_waitcnt lgkmcnt(0)
	s_barrier
	ds_read_b128 v[40:43], v187
	ds_read_b128 v[44:47], v187 offset:1248
	ds_read_b128 v[0:3], v187 offset:2496
	;; [unrolled: 1-line block ×9, first 2 shown]
	s_waitcnt lgkmcnt(7)
	v_mul_f64 v[36:37], v[110:111], v[2:3]
	v_fmac_f64_e32 v[36:37], v[108:109], v[0:1]
	v_mul_f64 v[0:1], v[110:111], v[0:1]
	v_fma_f64 v[38:39], v[108:109], v[2:3], -v[0:1]
	s_waitcnt lgkmcnt(5)
	v_mul_f64 v[0:1], v[106:107], v[8:9]
	v_mul_f64 v[54:55], v[106:107], v[10:11]
	v_fma_f64 v[56:57], v[104:105], v[10:11], -v[0:1]
	s_waitcnt lgkmcnt(3)
	v_mul_f64 v[58:59], v[102:103], v[18:19]
	v_mul_f64 v[0:1], v[102:103], v[16:17]
	v_fmac_f64_e32 v[54:55], v[104:105], v[8:9]
	v_fmac_f64_e32 v[58:59], v[100:101], v[16:17]
	v_fma_f64 v[16:17], v[100:101], v[18:19], -v[0:1]
	s_waitcnt lgkmcnt(1)
	v_mul_f64 v[0:1], v[98:99], v[28:29]
	v_mad_u64_u32 v[50:51], s[0:1], s6, v186, 0
	v_mul_f64 v[10:11], v[98:99], v[30:31]
	v_fma_f64 v[18:19], v[96:97], v[30:31], -v[0:1]
	v_mul_f64 v[30:31], v[110:111], v[6:7]
	v_mul_f64 v[0:1], v[110:111], v[4:5]
	v_add_f64 v[2:3], v[54:55], v[58:59]
	s_mov_b32 s2, 0x134454ff
	v_fmac_f64_e32 v[10:11], v[96:97], v[28:29]
	v_fmac_f64_e32 v[30:31], v[108:109], v[4:5]
	v_fma_f64 v[60:61], v[108:109], v[6:7], -v[0:1]
	v_mul_f64 v[62:63], v[106:107], v[14:15]
	v_mul_f64 v[0:1], v[106:107], v[12:13]
	v_fma_f64 v[4:5], -0.5, v[2:3], v[40:41]
	v_add_f64 v[2:3], v[38:39], -v[18:19]
	s_mov_b32 s3, 0xbfee6f0e
	s_mov_b32 s0, 0x4755a5e
	;; [unrolled: 1-line block ×4, first 2 shown]
	v_mov_b32_e32 v48, s12
	v_mov_b32_e32 v49, s13
	v_fmac_f64_e32 v[62:63], v[104:105], v[12:13]
	v_fma_f64 v[64:65], v[104:105], v[14:15], -v[0:1]
	v_fma_f64 v[8:9], s[2:3], v[2:3], v[4:5]
	v_add_f64 v[6:7], v[56:57], -v[16:17]
	s_mov_b32 s1, 0xbfe2cf23
	v_add_f64 v[12:13], v[36:37], -v[54:55]
	v_add_f64 v[14:15], v[10:11], -v[58:59]
	s_mov_b32 s8, 0x372fe950
	v_fmac_f64_e32 v[4:5], s[10:11], v[2:3]
	s_mov_b32 s13, 0x3fe2cf23
	s_mov_b32 s12, s0
	v_mul_f64 v[0:1], v[102:103], v[24:25]
	v_fmac_f64_e32 v[8:9], s[0:1], v[6:7]
	v_add_f64 v[12:13], v[12:13], v[14:15]
	s_mov_b32 s9, 0x3fd3c6ef
	v_fmac_f64_e32 v[4:5], s[12:13], v[6:7]
	v_fma_f64 v[68:69], v[100:101], v[26:27], -v[0:1]
	s_waitcnt lgkmcnt(0)
	v_mul_f64 v[0:1], v[98:99], v[32:33]
	v_fmac_f64_e32 v[8:9], s[8:9], v[12:13]
	v_fmac_f64_e32 v[4:5], s[8:9], v[12:13]
	v_add_f64 v[12:13], v[36:37], v[10:11]
	v_mul_f64 v[66:67], v[102:103], v[26:27]
	v_fma_f64 v[72:73], v[96:97], v[34:35], -v[0:1]
	v_add_f64 v[0:1], v[40:41], v[36:37]
	v_fmac_f64_e32 v[40:41], -0.5, v[12:13]
	v_fmac_f64_e32 v[66:67], v[100:101], v[24:25]
	v_add_f64 v[0:1], v[0:1], v[54:55]
	v_fma_f64 v[12:13], s[10:11], v[6:7], v[40:41]
	v_add_f64 v[14:15], v[54:55], -v[36:37]
	v_add_f64 v[24:25], v[58:59], -v[10:11]
	v_fmac_f64_e32 v[40:41], s[2:3], v[6:7]
	v_add_f64 v[6:7], v[56:57], v[16:17]
	v_add_f64 v[0:1], v[0:1], v[58:59]
	v_fmac_f64_e32 v[12:13], s[0:1], v[2:3]
	v_add_f64 v[14:15], v[14:15], v[24:25]
	v_fmac_f64_e32 v[40:41], s[12:13], v[2:3]
	v_fma_f64 v[6:7], -0.5, v[6:7], v[42:43]
	v_add_f64 v[24:25], v[36:37], -v[10:11]
	v_add_f64 v[0:1], v[0:1], v[10:11]
	v_fmac_f64_e32 v[12:13], s[8:9], v[14:15]
	v_fmac_f64_e32 v[40:41], s[8:9], v[14:15]
	v_fma_f64 v[10:11], s[10:11], v[24:25], v[6:7]
	v_add_f64 v[26:27], v[54:55], -v[58:59]
	v_add_f64 v[14:15], v[38:39], -v[56:57]
	;; [unrolled: 1-line block ×3, first 2 shown]
	v_fmac_f64_e32 v[6:7], s[2:3], v[24:25]
	v_add_f64 v[2:3], v[42:43], v[38:39]
	v_fmac_f64_e32 v[10:11], s[12:13], v[26:27]
	v_add_f64 v[14:15], v[14:15], v[28:29]
	;; [unrolled: 2-line block ×3, first 2 shown]
	v_fmac_f64_e32 v[10:11], s[8:9], v[14:15]
	v_fmac_f64_e32 v[6:7], s[8:9], v[14:15]
	v_add_f64 v[14:15], v[38:39], v[18:19]
	v_add_f64 v[2:3], v[2:3], v[16:17]
	v_fmac_f64_e32 v[42:43], -0.5, v[14:15]
	v_mul_f64 v[70:71], v[98:99], v[34:35]
	v_add_f64 v[2:3], v[2:3], v[18:19]
	v_fma_f64 v[14:15], s[2:3], v[26:27], v[42:43]
	v_add_f64 v[16:17], v[16:17], -v[18:19]
	v_fmac_f64_e32 v[42:43], s[10:11], v[26:27]
	v_add_f64 v[18:19], v[62:63], v[66:67]
	v_fmac_f64_e32 v[70:71], v[96:97], v[32:33]
	v_fmac_f64_e32 v[14:15], s[12:13], v[24:25]
	v_add_f64 v[28:29], v[56:57], -v[38:39]
	v_fmac_f64_e32 v[42:43], s[0:1], v[24:25]
	v_fma_f64 v[24:25], -0.5, v[18:19], v[44:45]
	v_add_f64 v[18:19], v[60:61], -v[72:73]
	v_add_f64 v[16:17], v[28:29], v[16:17]
	v_fma_f64 v[28:29], s[2:3], v[18:19], v[24:25]
	v_add_f64 v[26:27], v[64:65], -v[68:69]
	v_add_f64 v[32:33], v[30:31], -v[62:63]
	v_add_f64 v[34:35], v[70:71], -v[66:67]
	v_fmac_f64_e32 v[24:25], s[10:11], v[18:19]
	v_fmac_f64_e32 v[28:29], s[0:1], v[26:27]
	v_add_f64 v[32:33], v[32:33], v[34:35]
	v_fmac_f64_e32 v[24:25], s[12:13], v[26:27]
	v_fmac_f64_e32 v[28:29], s[8:9], v[32:33]
	;; [unrolled: 1-line block ×3, first 2 shown]
	v_add_f64 v[32:33], v[30:31], v[70:71]
	v_fmac_f64_e32 v[14:15], s[8:9], v[16:17]
	v_fmac_f64_e32 v[42:43], s[8:9], v[16:17]
	v_add_f64 v[16:17], v[44:45], v[30:31]
	v_fmac_f64_e32 v[44:45], -0.5, v[32:33]
	v_fma_f64 v[32:33], s[10:11], v[26:27], v[44:45]
	v_add_f64 v[34:35], v[62:63], -v[30:31]
	v_add_f64 v[36:37], v[66:67], -v[70:71]
	v_fmac_f64_e32 v[44:45], s[2:3], v[26:27]
	v_add_f64 v[26:27], v[64:65], v[68:69]
	v_fmac_f64_e32 v[32:33], s[0:1], v[18:19]
	v_add_f64 v[34:35], v[34:35], v[36:37]
	v_fmac_f64_e32 v[44:45], s[12:13], v[18:19]
	v_fma_f64 v[26:27], -0.5, v[26:27], v[46:47]
	v_add_f64 v[36:37], v[30:31], -v[70:71]
	v_fmac_f64_e32 v[32:33], s[8:9], v[34:35]
	v_fmac_f64_e32 v[44:45], s[8:9], v[34:35]
	v_fma_f64 v[30:31], s[10:11], v[36:37], v[26:27]
	v_add_f64 v[38:39], v[62:63], -v[66:67]
	v_add_f64 v[34:35], v[60:61], -v[64:65]
	;; [unrolled: 1-line block ×3, first 2 shown]
	v_fmac_f64_e32 v[26:27], s[2:3], v[36:37]
	v_fmac_f64_e32 v[30:31], s[12:13], v[38:39]
	v_add_f64 v[34:35], v[34:35], v[54:55]
	v_fmac_f64_e32 v[26:27], s[0:1], v[38:39]
	v_fmac_f64_e32 v[30:31], s[8:9], v[34:35]
	;; [unrolled: 1-line block ×3, first 2 shown]
	v_add_f64 v[34:35], v[60:61], v[72:73]
	v_add_f64 v[18:19], v[46:47], v[60:61]
	v_fmac_f64_e32 v[46:47], -0.5, v[34:35]
	v_add_f64 v[16:17], v[16:17], v[62:63]
	v_add_f64 v[18:19], v[18:19], v[64:65]
	v_fma_f64 v[34:35], s[2:3], v[38:39], v[46:47]
	v_add_f64 v[54:55], v[64:65], -v[60:61]
	v_add_f64 v[56:57], v[68:69], -v[72:73]
	v_add_f64 v[16:17], v[16:17], v[66:67]
	v_add_f64 v[18:19], v[18:19], v[68:69]
	v_fmac_f64_e32 v[34:35], s[12:13], v[36:37]
	v_add_f64 v[54:55], v[54:55], v[56:57]
	v_fmac_f64_e32 v[46:47], s[10:11], v[38:39]
	v_add_f64 v[16:17], v[16:17], v[70:71]
	v_add_f64 v[18:19], v[18:19], v[72:73]
	v_fmac_f64_e32 v[34:35], s[8:9], v[54:55]
	v_fmac_f64_e32 v[46:47], s[0:1], v[36:37]
	;; [unrolled: 1-line block ×3, first 2 shown]
	s_barrier
	ds_write_b128 v187, v[0:3]
	ds_write_b128 v187, v[8:11] offset:1248
	ds_write_b128 v187, v[12:15] offset:2496
	;; [unrolled: 1-line block ×9, first 2 shown]
	s_waitcnt lgkmcnt(0)
	s_barrier
	ds_read_b128 v[0:3], v187 offset:6240
	ds_read_b128 v[4:7], v187
	ds_read_b128 v[8:11], v187 offset:1248
	ds_read_b128 v[12:15], v187 offset:7488
	;; [unrolled: 1-line block ×8, first 2 shown]
	s_waitcnt lgkmcnt(9)
	v_mul_f64 v[44:45], v[118:119], v[2:3]
	v_fmac_f64_e32 v[44:45], v[116:117], v[0:1]
	v_mul_f64 v[0:1], v[118:119], v[0:1]
	v_fma_f64 v[2:3], v[116:117], v[2:3], -v[0:1]
	s_waitcnt lgkmcnt(6)
	v_mul_f64 v[0:1], v[122:123], v[12:13]
	v_mul_f64 v[46:47], v[122:123], v[14:15]
	v_fma_f64 v[14:15], v[120:121], v[14:15], -v[0:1]
	s_waitcnt lgkmcnt(5)
	v_mul_f64 v[0:1], v[126:127], v[16:17]
	;; [unrolled: 4-line block ×4, first 2 shown]
	v_mul_f64 v[0:1], v[134:135], v[40:41]
	v_fmac_f64_e32 v[46:47], v[120:121], v[12:13]
	v_fmac_f64_e32 v[54:55], v[124:125], v[16:17]
	;; [unrolled: 1-line block ×4, first 2 shown]
	v_fma_f64 v[42:43], v[132:133], v[42:43], -v[0:1]
	v_add_f64 v[0:1], v[4:5], -v[44:45]
	v_add_f64 v[2:3], v[6:7], -v[2:3]
	v_fma_f64 v[4:5], v[4:5], 2.0, -v[0:1]
	v_fma_f64 v[6:7], v[6:7], 2.0, -v[2:3]
	v_add_f64 v[12:13], v[8:9], -v[46:47]
	v_add_f64 v[14:15], v[10:11], -v[14:15]
	;; [unrolled: 1-line block ×8, first 2 shown]
	v_fma_f64 v[8:9], v[8:9], 2.0, -v[12:13]
	v_fma_f64 v[10:11], v[10:11], 2.0, -v[14:15]
	;; [unrolled: 1-line block ×8, first 2 shown]
	ds_write_b128 v187, v[4:7]
	ds_write_b128 v187, v[0:3] offset:6240
	ds_write_b128 v187, v[8:11] offset:1248
	;; [unrolled: 1-line block ×9, first 2 shown]
	s_waitcnt lgkmcnt(0)
	s_barrier
	ds_read_b128 v[0:3], v187
	v_mov_b32_e32 v52, v51
	v_accvgpr_read_b32 v10, a28
	v_mad_u64_u32 v[4:5], s[0:1], s7, v186, v[52:53]
	v_accvgpr_read_b32 v12, a30
	v_accvgpr_read_b32 v13, a31
	v_mov_b32_e32 v51, v4
	ds_read_b128 v[4:7], v187 offset:1248
	v_accvgpr_read_b32 v11, a29
	s_waitcnt lgkmcnt(1)
	v_mul_f64 v[8:9], v[12:13], v[2:3]
	v_fmac_f64_e32 v[8:9], v[10:11], v[0:1]
	s_mov_b32 s0, 0x15015015
	v_mul_f64 v[0:1], v[12:13], v[0:1]
	s_mov_b32 s1, 0x3f550150
	v_fma_f64 v[0:1], v[10:11], v[2:3], -v[0:1]
	v_mad_u64_u32 v[12:13], s[2:3], s4, v184, 0
	v_mul_f64 v[10:11], v[0:1], s[0:1]
	v_mov_b32_e32 v0, v13
	v_mad_u64_u32 v[0:1], s[2:3], s5, v184, v[0:1]
	v_mov_b32_e32 v13, v0
	ds_read_b128 v[0:3], v187 offset:6240
	v_lshl_add_u64 v[14:15], v[50:51], 4, v[48:49]
	v_accvgpr_read_b32 v21, a3
	v_mul_f64 v[8:9], v[8:9], s[0:1]
	v_lshl_add_u64 v[16:17], v[12:13], 4, v[14:15]
	v_accvgpr_read_b32 v20, a2
	global_store_dwordx4 v[16:17], v[8:11], off
	ds_read_b128 v[8:11], v187 offset:4992
	v_accvgpr_read_b32 v19, a1
	v_accvgpr_read_b32 v18, a0
	s_waitcnt lgkmcnt(1)
	v_mul_f64 v[12:13], v[20:21], v[2:3]
	v_fmac_f64_e32 v[12:13], v[18:19], v[0:1]
	v_mul_f64 v[0:1], v[20:21], v[0:1]
	v_mov_b32_e32 v22, 0x1860
	v_fma_f64 v[0:1], v[18:19], v[2:3], -v[0:1]
	v_mad_u64_u32 v[16:17], s[2:3], s4, v22, v[16:17]
	s_mul_i32 s6, s5, 0x1860
	v_mul_f64 v[12:13], v[12:13], s[0:1]
	v_mul_f64 v[14:15], v[0:1], s[0:1]
	v_add_u32_e32 v17, s6, v17
	global_store_dwordx4 v[16:17], v[12:15], off
	v_mov_b32_e32 v23, 0xffffec80
	v_mad_u64_u32 v[16:17], s[2:3], s4, v23, v[16:17]
	v_accvgpr_read_b32 v15, a7
	v_accvgpr_read_b32 v14, a6
	;; [unrolled: 1-line block ×4, first 2 shown]
	v_mul_f64 v[0:1], v[14:15], v[6:7]
	v_mul_f64 v[2:3], v[14:15], v[4:5]
	v_fmac_f64_e32 v[0:1], v[12:13], v[4:5]
	v_fma_f64 v[2:3], v[12:13], v[6:7], -v[2:3]
	ds_read_b128 v[4:7], v187 offset:7488
	s_mul_i32 s2, s5, 0xffffec80
	s_sub_i32 s5, s2, s4
	v_accvgpr_read_b32 v21, a11
	v_mul_f64 v[0:1], v[0:1], s[0:1]
	v_mul_f64 v[2:3], v[2:3], s[0:1]
	v_add_u32_e32 v17, s5, v17
	v_accvgpr_read_b32 v20, a10
	global_store_dwordx4 v[16:17], v[0:3], off
	ds_read_b128 v[0:3], v187 offset:8736
	v_accvgpr_read_b32 v19, a9
	v_accvgpr_read_b32 v18, a8
	s_waitcnt lgkmcnt(1)
	v_mul_f64 v[12:13], v[20:21], v[6:7]
	v_fmac_f64_e32 v[12:13], v[18:19], v[4:5]
	v_mul_f64 v[4:5], v[20:21], v[4:5]
	v_fma_f64 v[4:5], v[18:19], v[6:7], -v[4:5]
	v_mul_f64 v[14:15], v[4:5], s[0:1]
	ds_read_b128 v[4:7], v187 offset:2496
	v_mad_u64_u32 v[20:21], s[2:3], s4, v22, v[16:17]
	v_accvgpr_read_b32 v27, a15
	v_mul_f64 v[12:13], v[12:13], s[0:1]
	v_add_u32_e32 v21, s6, v21
	v_accvgpr_read_b32 v26, a14
	global_store_dwordx4 v[20:21], v[12:15], off
	ds_read_b128 v[12:15], v187 offset:3744
	v_accvgpr_read_b32 v25, a13
	v_accvgpr_read_b32 v24, a12
	s_waitcnt lgkmcnt(1)
	v_mul_f64 v[16:17], v[26:27], v[6:7]
	v_fmac_f64_e32 v[16:17], v[24:25], v[4:5]
	v_mul_f64 v[4:5], v[26:27], v[4:5]
	v_fma_f64 v[4:5], v[24:25], v[6:7], -v[4:5]
	v_mad_u64_u32 v[20:21], s[2:3], s4, v23, v[20:21]
	v_mul_f64 v[16:17], v[16:17], s[0:1]
	v_mul_f64 v[18:19], v[4:5], s[0:1]
	v_add_u32_e32 v21, s5, v21
	global_store_dwordx4 v[20:21], v[16:19], off
	s_nop 1
	v_accvgpr_read_b32 v16, a16
	v_accvgpr_read_b32 v18, a18
	;; [unrolled: 1-line block ×4, first 2 shown]
	v_mul_f64 v[4:5], v[18:19], v[2:3]
	v_fmac_f64_e32 v[4:5], v[16:17], v[0:1]
	v_mul_f64 v[0:1], v[18:19], v[0:1]
	v_fma_f64 v[0:1], v[16:17], v[2:3], -v[0:1]
	v_mad_u64_u32 v[16:17], s[2:3], s4, v22, v[20:21]
	v_mul_f64 v[4:5], v[4:5], s[0:1]
	v_mul_f64 v[6:7], v[0:1], s[0:1]
	v_add_u32_e32 v17, s6, v17
	global_store_dwordx4 v[16:17], v[4:7], off
	v_mad_u64_u32 v[16:17], s[2:3], s4, v23, v[16:17]
	s_nop 0
	v_accvgpr_read_b32 v4, a24
	v_accvgpr_read_b32 v6, a26
	;; [unrolled: 1-line block ×4, first 2 shown]
	s_waitcnt lgkmcnt(0)
	v_mul_f64 v[0:1], v[6:7], v[14:15]
	v_mul_f64 v[2:3], v[6:7], v[12:13]
	v_fmac_f64_e32 v[0:1], v[4:5], v[12:13]
	v_fma_f64 v[2:3], v[4:5], v[14:15], -v[2:3]
	ds_read_b128 v[4:7], v187 offset:9984
	v_accvgpr_read_b32 v18, a20
	v_mul_f64 v[0:1], v[0:1], s[0:1]
	v_mul_f64 v[2:3], v[2:3], s[0:1]
	v_add_u32_e32 v17, s5, v17
	v_accvgpr_read_b32 v20, a22
	v_accvgpr_read_b32 v21, a23
	global_store_dwordx4 v[16:17], v[0:3], off
	ds_read_b128 v[0:3], v187 offset:11232
	v_accvgpr_read_b32 v19, a21
	s_waitcnt lgkmcnt(1)
	v_mul_f64 v[12:13], v[20:21], v[6:7]
	v_fmac_f64_e32 v[12:13], v[18:19], v[4:5]
	v_mul_f64 v[4:5], v[20:21], v[4:5]
	v_fma_f64 v[4:5], v[18:19], v[6:7], -v[4:5]
	v_mad_u64_u32 v[16:17], s[2:3], s4, v22, v[16:17]
	v_mul_f64 v[12:13], v[12:13], s[0:1]
	v_mul_f64 v[14:15], v[4:5], s[0:1]
	v_add_u32_e32 v17, s6, v17
	global_store_dwordx4 v[16:17], v[12:15], off
	s_nop 1
	v_accvgpr_read_b32 v12, a32
	v_accvgpr_read_b32 v14, a34
	v_accvgpr_read_b32 v15, a35
	v_accvgpr_read_b32 v13, a33
	v_mul_f64 v[4:5], v[14:15], v[10:11]
	v_mul_f64 v[6:7], v[14:15], v[8:9]
	v_fmac_f64_e32 v[4:5], v[12:13], v[8:9]
	v_fma_f64 v[6:7], v[12:13], v[10:11], -v[6:7]
	v_mad_u64_u32 v[8:9], s[2:3], s4, v23, v[16:17]
	v_accvgpr_read_b32 v10, a36
	v_mul_f64 v[4:5], v[4:5], s[0:1]
	v_mul_f64 v[6:7], v[6:7], s[0:1]
	v_add_u32_e32 v9, s5, v9
	v_accvgpr_read_b32 v12, a38
	v_accvgpr_read_b32 v13, a39
	global_store_dwordx4 v[8:9], v[4:7], off
	v_accvgpr_read_b32 v11, a37
	s_waitcnt lgkmcnt(0)
	v_mul_f64 v[4:5], v[12:13], v[2:3]
	v_fmac_f64_e32 v[4:5], v[10:11], v[0:1]
	v_mul_f64 v[0:1], v[12:13], v[0:1]
	v_fma_f64 v[0:1], v[10:11], v[2:3], -v[0:1]
	v_mul_f64 v[4:5], v[4:5], s[0:1]
	v_mul_f64 v[6:7], v[0:1], s[0:1]
	v_mad_u64_u32 v[0:1], s[0:1], s4, v22, v[8:9]
	v_add_u32_e32 v1, s6, v1
	global_store_dwordx4 v[0:1], v[4:7], off
.LBB0_18:
	s_endpgm
	.section	.rodata,"a",@progbits
	.p2align	6, 0x0
	.amdhsa_kernel bluestein_single_back_len780_dim1_dp_op_CI_CI
		.amdhsa_group_segment_fixed_size 37440
		.amdhsa_private_segment_fixed_size 0
		.amdhsa_kernarg_size 104
		.amdhsa_user_sgpr_count 2
		.amdhsa_user_sgpr_dispatch_ptr 0
		.amdhsa_user_sgpr_queue_ptr 0
		.amdhsa_user_sgpr_kernarg_segment_ptr 1
		.amdhsa_user_sgpr_dispatch_id 0
		.amdhsa_user_sgpr_kernarg_preload_length 0
		.amdhsa_user_sgpr_kernarg_preload_offset 0
		.amdhsa_user_sgpr_private_segment_size 0
		.amdhsa_uses_dynamic_stack 0
		.amdhsa_enable_private_segment 0
		.amdhsa_system_sgpr_workgroup_id_x 1
		.amdhsa_system_sgpr_workgroup_id_y 0
		.amdhsa_system_sgpr_workgroup_id_z 0
		.amdhsa_system_sgpr_workgroup_info 0
		.amdhsa_system_vgpr_workitem_id 0
		.amdhsa_next_free_vgpr 360
		.amdhsa_next_free_sgpr 52
		.amdhsa_accum_offset 256
		.amdhsa_reserve_vcc 1
		.amdhsa_float_round_mode_32 0
		.amdhsa_float_round_mode_16_64 0
		.amdhsa_float_denorm_mode_32 3
		.amdhsa_float_denorm_mode_16_64 3
		.amdhsa_dx10_clamp 1
		.amdhsa_ieee_mode 1
		.amdhsa_fp16_overflow 0
		.amdhsa_tg_split 0
		.amdhsa_exception_fp_ieee_invalid_op 0
		.amdhsa_exception_fp_denorm_src 0
		.amdhsa_exception_fp_ieee_div_zero 0
		.amdhsa_exception_fp_ieee_overflow 0
		.amdhsa_exception_fp_ieee_underflow 0
		.amdhsa_exception_fp_ieee_inexact 0
		.amdhsa_exception_int_div_zero 0
	.end_amdhsa_kernel
	.text
.Lfunc_end0:
	.size	bluestein_single_back_len780_dim1_dp_op_CI_CI, .Lfunc_end0-bluestein_single_back_len780_dim1_dp_op_CI_CI
                                        ; -- End function
	.section	.AMDGPU.csdata,"",@progbits
; Kernel info:
; codeLenInByte = 19008
; NumSgprs: 58
; NumVgprs: 256
; NumAgprs: 104
; TotalNumVgprs: 360
; ScratchSize: 0
; MemoryBound: 0
; FloatMode: 240
; IeeeMode: 1
; LDSByteSize: 37440 bytes/workgroup (compile time only)
; SGPRBlocks: 7
; VGPRBlocks: 44
; NumSGPRsForWavesPerEU: 58
; NumVGPRsForWavesPerEU: 360
; AccumOffset: 256
; Occupancy: 1
; WaveLimiterHint : 1
; COMPUTE_PGM_RSRC2:SCRATCH_EN: 0
; COMPUTE_PGM_RSRC2:USER_SGPR: 2
; COMPUTE_PGM_RSRC2:TRAP_HANDLER: 0
; COMPUTE_PGM_RSRC2:TGID_X_EN: 1
; COMPUTE_PGM_RSRC2:TGID_Y_EN: 0
; COMPUTE_PGM_RSRC2:TGID_Z_EN: 0
; COMPUTE_PGM_RSRC2:TIDIG_COMP_CNT: 0
; COMPUTE_PGM_RSRC3_GFX90A:ACCUM_OFFSET: 63
; COMPUTE_PGM_RSRC3_GFX90A:TG_SPLIT: 0
	.text
	.p2alignl 6, 3212836864
	.fill 256, 4, 3212836864
	.type	__hip_cuid_17b07ab814a4f633,@object ; @__hip_cuid_17b07ab814a4f633
	.section	.bss,"aw",@nobits
	.globl	__hip_cuid_17b07ab814a4f633
__hip_cuid_17b07ab814a4f633:
	.byte	0                               ; 0x0
	.size	__hip_cuid_17b07ab814a4f633, 1

	.ident	"AMD clang version 19.0.0git (https://github.com/RadeonOpenCompute/llvm-project roc-6.4.0 25133 c7fe45cf4b819c5991fe208aaa96edf142730f1d)"
	.section	".note.GNU-stack","",@progbits
	.addrsig
	.addrsig_sym __hip_cuid_17b07ab814a4f633
	.amdgpu_metadata
---
amdhsa.kernels:
  - .agpr_count:     104
    .args:
      - .actual_access:  read_only
        .address_space:  global
        .offset:         0
        .size:           8
        .value_kind:     global_buffer
      - .actual_access:  read_only
        .address_space:  global
        .offset:         8
        .size:           8
        .value_kind:     global_buffer
      - .actual_access:  read_only
        .address_space:  global
        .offset:         16
        .size:           8
        .value_kind:     global_buffer
      - .actual_access:  read_only
        .address_space:  global
        .offset:         24
        .size:           8
        .value_kind:     global_buffer
      - .actual_access:  read_only
        .address_space:  global
        .offset:         32
        .size:           8
        .value_kind:     global_buffer
      - .offset:         40
        .size:           8
        .value_kind:     by_value
      - .address_space:  global
        .offset:         48
        .size:           8
        .value_kind:     global_buffer
      - .address_space:  global
        .offset:         56
        .size:           8
        .value_kind:     global_buffer
      - .address_space:  global
        .offset:         64
        .size:           8
        .value_kind:     global_buffer
      - .address_space:  global
        .offset:         72
        .size:           8
        .value_kind:     global_buffer
      - .offset:         80
        .size:           4
        .value_kind:     by_value
      - .address_space:  global
        .offset:         88
        .size:           8
        .value_kind:     global_buffer
      - .address_space:  global
        .offset:         96
        .size:           8
        .value_kind:     global_buffer
    .group_segment_fixed_size: 37440
    .kernarg_segment_align: 8
    .kernarg_segment_size: 104
    .language:       OpenCL C
    .language_version:
      - 2
      - 0
    .max_flat_workgroup_size: 234
    .name:           bluestein_single_back_len780_dim1_dp_op_CI_CI
    .private_segment_fixed_size: 0
    .sgpr_count:     58
    .sgpr_spill_count: 0
    .symbol:         bluestein_single_back_len780_dim1_dp_op_CI_CI.kd
    .uniform_work_group_size: 1
    .uses_dynamic_stack: false
    .vgpr_count:     360
    .vgpr_spill_count: 0
    .wavefront_size: 64
amdhsa.target:   amdgcn-amd-amdhsa--gfx950
amdhsa.version:
  - 1
  - 2
...

	.end_amdgpu_metadata
